;; amdgpu-corpus repo=ROCm/rocFFT kind=compiled arch=gfx1030 opt=O3
	.text
	.amdgcn_target "amdgcn-amd-amdhsa--gfx1030"
	.amdhsa_code_object_version 6
	.protected	bluestein_single_fwd_len1188_dim1_sp_op_CI_CI ; -- Begin function bluestein_single_fwd_len1188_dim1_sp_op_CI_CI
	.globl	bluestein_single_fwd_len1188_dim1_sp_op_CI_CI
	.p2align	8
	.type	bluestein_single_fwd_len1188_dim1_sp_op_CI_CI,@function
bluestein_single_fwd_len1188_dim1_sp_op_CI_CI: ; @bluestein_single_fwd_len1188_dim1_sp_op_CI_CI
; %bb.0:
	s_load_dwordx4 s[16:19], s[4:5], 0x28
	v_mul_u32_u24_e32 v1, 0x3e1, v0
	v_lshrrev_b32_e32 v1, 16, v1
	v_mad_u64_u32 v[138:139], null, s6, 3, v[1:2]
	v_mov_b32_e32 v139, 0
                                        ; kill: def $vgpr2 killed $sgpr0 killed $exec
	s_mov_b32 s0, exec_lo
	s_waitcnt lgkmcnt(0)
	v_cmpx_gt_u64_e64 s[16:17], v[138:139]
	s_cbranch_execz .LBB0_10
; %bb.1:
	s_clause 0x1
	s_load_dwordx4 s[0:3], s[4:5], 0x18
	s_load_dwordx4 s[12:15], s[4:5], 0x0
	v_mul_lo_u16 v1, 0x42, v1
                                        ; implicit-def: $vgpr74
                                        ; implicit-def: $vgpr76
                                        ; implicit-def: $vgpr82
	v_sub_nc_u16 v0, v0, v1
	v_and_b32_e32 v179, 0xffff, v0
	v_mul_lo_u16 v43, v0, 6
	v_lshlrev_b32_e32 v88, 3, v179
	v_add_co_u32 v85, null, 0x42, v179
	s_waitcnt lgkmcnt(0)
	s_load_dwordx4 s[8:11], s[0:1], 0x0
	s_clause 0x1
	global_load_dwordx2 v[149:150], v88, s[12:13]
	global_load_dwordx2 v[139:140], v88, s[12:13] offset:528
	v_add_co_u32 v17, s0, s12, v88
	v_add_co_ci_u32_e64 v18, null, s13, 0, s0
	s_clause 0x1
	global_load_dwordx2 v[155:156], v88, s[12:13] offset:1584
	global_load_dwordx2 v[124:125], v88, s[12:13] offset:1056
	v_add_co_u32 v84, null, 0x84, v179
	s_waitcnt lgkmcnt(0)
	v_mad_u64_u32 v[1:2], null, s10, v138, 0
	v_mad_u64_u32 v[3:4], null, s8, v179, 0
	s_mul_i32 s0, s9, 0x630
	s_mul_hi_u32 s1, s8, 0x630
	s_mul_i32 s6, s8, 0x630
	s_add_i32 s1, s1, s0
	s_mul_i32 s0, s9, 0xffffe320
	v_mad_u64_u32 v[5:6], null, s11, v138, v[2:3]
	v_mov_b32_e32 v2, v4
	s_sub_i32 s0, s0, s8
	v_mad_u64_u32 v[6:7], null, s9, v179, v[2:3]
	v_mov_b32_e32 v2, v5
	v_lshlrev_b64 v[1:2], 3, v[1:2]
	v_mov_b32_e32 v4, v6
	v_lshlrev_b64 v[3:4], 3, v[3:4]
	v_add_co_u32 v1, vcc_lo, s18, v1
	v_add_co_ci_u32_e32 v2, vcc_lo, s19, v2, vcc_lo
	v_add_co_u32 v1, vcc_lo, v1, v3
	v_add_co_ci_u32_e32 v2, vcc_lo, v2, v4, vcc_lo
	;; [unrolled: 2-line block ×11, first 2 shown]
	s_clause 0x3
	global_load_dwordx2 v[159:160], v[5:6], off offset:1120
	global_load_dwordx2 v[157:158], v[9:10], off offset:656
	;; [unrolled: 1-line block ×4, first 2 shown]
	global_load_dwordx2 v[23:24], v[1:2], off
	global_load_dwordx2 v[143:144], v[5:6], off offset:64
	global_load_dwordx2 v[3:4], v[3:4], off
	v_mad_u64_u32 v[21:22], null, 0xffffe320, s8, v[19:20]
	s_clause 0x2
	global_load_dwordx2 v[7:8], v[7:8], off
	global_load_dwordx2 v[11:12], v[11:12], off
	global_load_dwordx2 v[15:16], v[15:16], off
	global_load_dwordx2 v[19:20], v[19:20], off
	global_load_dwordx2 v[145:146], v[5:6], off offset:1648
	v_add_nc_u32_e32 v22, s0, v22
	v_add_co_u32 v1, vcc_lo, v21, s6
	v_add_co_ci_u32_e32 v2, vcc_lo, s1, v22, vcc_lo
	v_add_co_u32 v25, vcc_lo, v1, s6
	global_load_dwordx2 v[21:22], v[21:22], off
	v_add_co_ci_u32_e32 v26, vcc_lo, s1, v2, vcc_lo
	v_add_co_u32 v27, vcc_lo, v25, s6
	global_load_dwordx2 v[141:142], v[13:14], off offset:720
	global_load_dwordx2 v[33:34], v[1:2], off
	global_load_dwordx2 v[136:137], v[17:18], off offset:256
	v_add_co_ci_u32_e32 v28, vcc_lo, s1, v26, vcc_lo
	v_add_co_u32 v29, vcc_lo, v27, s6
	v_add_co_ci_u32_e32 v30, vcc_lo, s1, v28, vcc_lo
	v_add_co_u32 v31, vcc_lo, v29, s6
	global_load_dwordx2 v[128:129], v[5:6], off offset:592
	global_load_dwordx2 v[5:6], v[25:26], off
	s_clause 0x2
	global_load_dwordx2 v[147:148], v[9:10], off offset:1184
	global_load_dwordx2 v[126:127], v[9:10], off offset:1712
	;; [unrolled: 1-line block ×3, first 2 shown]
	global_load_dwordx2 v[9:10], v[27:28], off
	global_load_dwordx2 v[25:26], v[29:30], off
	v_add_co_ci_u32_e32 v32, vcc_lo, s1, v30, vcc_lo
	v_mad_u64_u32 v[1:2], null, 0xffffe320, s8, v[31:32]
	global_load_dwordx2 v[27:28], v[31:32], off
	v_add_nc_u32_e32 v2, s0, v2
	v_add_co_u32 v29, vcc_lo, v1, s6
	v_add_co_ci_u32_e32 v30, vcc_lo, s1, v2, vcc_lo
	global_load_dwordx2 v[31:32], v[1:2], off
	v_add_co_u32 v1, vcc_lo, v29, s6
	v_add_co_ci_u32_e32 v2, vcc_lo, s1, v30, vcc_lo
	global_load_dwordx2 v[29:30], v[29:30], off
	;; [unrolled: 3-line block ×4, first 2 shown]
	v_add_co_u32 v39, vcc_lo, v1, s6
	v_add_co_ci_u32_e32 v40, vcc_lo, s1, v2, vcc_lo
	global_load_dwordx2 v[130:131], v[13:14], off offset:1248
	global_load_dwordx2 v[13:14], v[1:2], off
	global_load_dwordx2 v[132:133], v[17:18], off offset:784
	global_load_dwordx2 v[17:18], v[39:40], off
	v_mul_hi_u32 v1, 0xaaaaaaab, v138
	s_load_dwordx4 s[8:11], s[2:3], 0x0
	s_load_dwordx2 s[2:3], s[4:5], 0x38
	v_cmp_gt_u16_e32 vcc_lo, 42, v0
	v_lshrrev_b32_e32 v1, 1, v1
	v_lshl_add_u32 v1, v1, 1, v1
	v_sub_nc_u32_e32 v1, v138, v1
	v_mul_u32_u24_e32 v89, 0x4a4, v1
	v_lshlrev_b32_e32 v181, 3, v89
	v_add_nc_u32_e32 v180, v88, v181
	v_add_nc_u32_e32 v1, 0x800, v180
	;; [unrolled: 1-line block ×7, first 2 shown]
	s_waitcnt vmcnt(27)
	v_mul_f32_e32 v40, v23, v150
	v_mul_f32_e32 v39, v24, v150
	s_waitcnt vmcnt(25)
	v_mul_f32_e32 v41, v4, v156
	v_fma_f32 v40, v24, v149, -v40
	v_mul_f32_e32 v24, v3, v156
	v_fmac_f32_e32 v41, v3, v155
	s_waitcnt vmcnt(24)
	v_mul_f32_e32 v3, v8, v160
	v_mul_f32_e32 v45, v7, v160
	s_waitcnt vmcnt(23)
	v_mul_f32_e32 v46, v11, v158
	v_fma_f32 v42, v4, v155, -v24
	v_fmac_f32_e32 v39, v23, v149
	v_fmac_f32_e32 v3, v7, v159
	v_fma_f32 v4, v8, v159, -v45
	s_waitcnt vmcnt(22)
	v_mul_f32_e32 v7, v16, v154
	ds_write_b64 v180, v[41:42] offset:1584
	ds_write_b64 v180, v[3:4] offset:3168
	v_mul_f32_e32 v4, v15, v154
	v_fmac_f32_e32 v7, v15, v153
	v_mul_f32_e32 v23, v12, v158
	v_fma_f32 v24, v12, v157, -v46
	s_waitcnt vmcnt(21)
	v_mul_f32_e32 v3, v20, v152
	v_fma_f32 v8, v16, v153, -v4
	v_mul_f32_e32 v12, v19, v152
	v_fmac_f32_e32 v23, v11, v157
	s_waitcnt vmcnt(19)
	v_mul_f32_e32 v11, v22, v140
	v_mul_f32_e32 v15, v21, v140
	ds_write_b64 v180, v[7:8] offset:6336
	s_waitcnt vmcnt(17)
	v_mul_f32_e32 v7, v33, v144
	v_fmac_f32_e32 v3, v19, v151
	v_fma_f32 v4, v20, v151, -v12
	v_fmac_f32_e32 v11, v21, v139
	s_waitcnt vmcnt(10)
	v_mul_f32_e32 v8, v9, v148
	v_fma_f32 v16, v34, v143, -v7
	v_mul_f32_e32 v7, v10, v148
	v_fma_f32 v12, v22, v139, -v15
	ds_write_b64 v180, v[23:24] offset:4752
	v_fma_f32 v8, v10, v147, -v8
	ds_write_b64 v180, v[3:4] offset:7920
	ds_write2_b64 v180, v[39:40], v[11:12] offset1:66
	v_fmac_f32_e32 v7, v9, v147
	v_mul_f32_e32 v3, v6, v146
	v_mul_f32_e32 v4, v5, v146
	;; [unrolled: 1-line block ×3, first 2 shown]
	s_waitcnt vmcnt(8)
	v_mul_f32_e32 v11, v28, v137
	v_mul_f32_e32 v12, v27, v137
	v_fmac_f32_e32 v3, v5, v145
	v_mul_f32_e32 v5, v26, v142
	v_fma_f32 v4, v6, v145, -v4
	v_mul_f32_e32 v6, v25, v142
	v_fmac_f32_e32 v15, v33, v143
	v_fmac_f32_e32 v11, v27, v136
	;; [unrolled: 1-line block ×3, first 2 shown]
	v_fma_f32 v12, v28, v136, -v12
	s_waitcnt vmcnt(7)
	v_mul_f32_e32 v9, v32, v125
	v_mul_f32_e32 v10, v31, v125
	v_fma_f32 v6, v26, v141, -v6
	v_and_b32_e32 v27, 0xffff, v43
	v_mul_u32_u24_e32 v28, 6, v85
	v_fmac_f32_e32 v9, v31, v124
	v_fma_f32 v10, v32, v124, -v10
	s_waitcnt vmcnt(6)
	v_mul_f32_e32 v19, v30, v129
	v_mul_f32_e32 v20, v29, v129
	v_lshl_add_u32 v106, v27, 3, v181
	v_lshl_add_u32 v105, v28, 3, v181
	ds_write_b64 v180, v[9:10] offset:1056
	s_waitcnt vmcnt(5)
	v_mul_f32_e32 v9, v38, v135
	v_mul_f32_e32 v10, v37, v135
	v_fmac_f32_e32 v19, v29, v128
	s_waitcnt vmcnt(4)
	v_mul_f32_e32 v21, v36, v127
	v_mul_f32_e32 v22, v35, v127
	v_fma_f32 v20, v30, v128, -v20
	s_waitcnt vmcnt(2)
	v_mul_f32_e32 v23, v14, v131
	v_mul_f32_e32 v24, v13, v131
	s_waitcnt vmcnt(0)
	v_mul_f32_e32 v25, v18, v133
	v_mul_f32_e32 v26, v17, v133
	v_fmac_f32_e32 v9, v37, v134
	v_fma_f32 v10, v38, v134, -v10
	v_fmac_f32_e32 v21, v35, v126
	v_fma_f32 v22, v36, v126, -v22
	v_fmac_f32_e32 v23, v13, v130
	v_fma_f32 v24, v14, v130, -v24
	v_mul_u32_u24_e32 v29, 6, v84
	v_fmac_f32_e32 v25, v17, v132
	v_fma_f32 v26, v18, v132, -v26
	ds_write2_b64 v1, v[15:16], v[19:20] offset0:8 offset1:74
	ds_write2_b64 v2, v[3:4], v[9:10] offset0:78 offset1:144
	;; [unrolled: 1-line block ×5, first 2 shown]
	s_waitcnt lgkmcnt(0)
	s_barrier
	buffer_gl0_inv
	ds_read2_b64 v[3:6], v180 offset1:66
	ds_read2_b64 v[7:10], v1 offset0:140 offset1:206
	ds_read2_b64 v[11:14], v55 offset0:24 offset1:90
	;; [unrolled: 1-line block ×5, first 2 shown]
	v_lshl_add_u32 v104, v29, 3, v181
	ds_read2_b64 v[27:30], v1 offset0:8 offset1:74
	ds_read2_b64 v[31:34], v54 offset0:148 offset1:214
	;; [unrolled: 1-line block ×3, first 2 shown]
	s_waitcnt lgkmcnt(0)
	s_barrier
	buffer_gl0_inv
	v_add_f32_e32 v39, v3, v7
	v_add_f32_e32 v40, v7, v11
	;; [unrolled: 1-line block ×3, first 2 shown]
	v_sub_f32_e32 v45, v22, v26
	v_add_f32_e32 v46, v18, v22
	v_add_f32_e32 v22, v22, v26
	v_sub_f32_e32 v41, v8, v12
	v_add_f32_e32 v42, v4, v8
	v_add_f32_e32 v8, v8, v12
	v_add_f32_e32 v43, v17, v21
	v_sub_f32_e32 v49, v10, v14
	v_add_f32_e32 v50, v6, v10
	;; [unrolled: 4-line block ×3, first 2 shown]
	v_add_f32_e32 v32, v32, v36
	v_sub_f32_e32 v7, v7, v11
	v_sub_f32_e32 v21, v21, v25
	v_add_f32_e32 v47, v5, v9
	v_add_f32_e32 v51, v27, v31
	v_sub_f32_e32 v60, v20, v24
	v_add_f32_e32 v61, v16, v20
	v_add_f32_e32 v20, v20, v24
	;; [unrolled: 1-line block ×3, first 2 shown]
	v_sub_f32_e32 v64, v34, v38
	v_add_f32_e32 v65, v30, v34
	v_add_f32_e32 v34, v34, v38
	;; [unrolled: 1-line block ×3, first 2 shown]
	v_fma_f32 v3, -0.5, v40, v3
	v_fma_f32 v39, -0.5, v44, v17
	;; [unrolled: 1-line block ×3, first 2 shown]
	v_add_f32_e32 v58, v15, v19
	v_add_f32_e32 v62, v29, v33
	;; [unrolled: 1-line block ×3, first 2 shown]
	v_sub_f32_e32 v9, v9, v13
	v_sub_f32_e32 v31, v31, v35
	v_fma_f32 v4, -0.5, v8, v4
	v_add_f32_e32 v25, v43, v25
	v_fmac_f32_e32 v6, -0.5, v10
	v_fma_f32 v27, -0.5, v52, v27
	v_fma_f32 v28, -0.5, v32, v28
	v_add_f32_e32 v59, v19, v23
	v_sub_f32_e32 v19, v19, v23
	v_sub_f32_e32 v33, v33, v37
	v_add_f32_e32 v12, v42, v12
	v_add_f32_e32 v17, v46, v26
	v_add_f32_e32 v26, v47, v13
	v_add_f32_e32 v40, v50, v14
	v_add_f32_e32 v10, v51, v35
	v_add_f32_e32 v35, v57, v36
	v_fmac_f32_e32 v16, -0.5, v20
	v_fma_f32 v29, -0.5, v63, v29
	v_fmac_f32_e32 v30, -0.5, v34
	v_fmamk_f32 v34, v41, 0x3f5db3d7, v3
	v_fmac_f32_e32 v3, 0xbf5db3d7, v41
	v_fmamk_f32 v41, v45, 0x3f5db3d7, v39
	v_fmamk_f32 v42, v21, 0xbf5db3d7, v22
	v_add_f32_e32 v32, v58, v23
	v_add_f32_e32 v20, v62, v37
	v_fmac_f32_e32 v39, 0xbf5db3d7, v45
	v_fmac_f32_e32 v22, 0x3f5db3d7, v21
	v_fma_f32 v5, -0.5, v48, v5
	v_add_f32_e32 v36, v61, v24
	v_add_f32_e32 v37, v65, v38
	v_fmamk_f32 v38, v7, 0xbf5db3d7, v4
	v_fmac_f32_e32 v4, 0x3f5db3d7, v7
	v_add_f32_e32 v7, v11, v25
	v_sub_f32_e32 v13, v11, v25
	v_fmamk_f32 v44, v9, 0xbf5db3d7, v6
	v_fmac_f32_e32 v6, 0x3f5db3d7, v9
	v_fmamk_f32 v9, v53, 0x3f5db3d7, v27
	v_fmamk_f32 v11, v31, 0xbf5db3d7, v28
	v_fmac_f32_e32 v27, 0xbf5db3d7, v53
	v_fmac_f32_e32 v28, 0x3f5db3d7, v31
	v_fma_f32 v15, -0.5, v59, v15
	v_add_f32_e32 v8, v12, v17
	v_sub_f32_e32 v14, v12, v17
	v_add_f32_e32 v17, v26, v10
	v_add_f32_e32 v18, v40, v35
	v_sub_f32_e32 v23, v26, v10
	v_sub_f32_e32 v24, v40, v35
	v_fmamk_f32 v35, v19, 0xbf5db3d7, v16
	v_fmac_f32_e32 v16, 0x3f5db3d7, v19
	v_fmamk_f32 v10, v64, 0x3f5db3d7, v29
	v_fmac_f32_e32 v29, 0xbf5db3d7, v64
	;; [unrolled: 2-line block ×3, first 2 shown]
	v_mul_f32_e32 v19, 0x3f5db3d7, v42
	v_mul_f32_e32 v21, 0xbf5db3d7, v41
	v_add_f32_e32 v50, v32, v20
	v_sub_f32_e32 v48, v32, v20
	v_mul_f32_e32 v20, -0.5, v39
	v_mul_f32_e32 v32, -0.5, v22
	v_fmamk_f32 v43, v49, 0x3f5db3d7, v5
	v_fmac_f32_e32 v5, 0xbf5db3d7, v49
	v_add_f32_e32 v51, v36, v37
	v_sub_f32_e32 v49, v36, v37
	v_mul_f32_e32 v33, 0x3f5db3d7, v11
	v_mul_f32_e32 v37, 0xbf5db3d7, v9
	v_mul_f32_e32 v36, -0.5, v27
	v_mul_f32_e32 v45, -0.5, v28
	v_fmamk_f32 v31, v60, 0x3f5db3d7, v15
	v_fmac_f32_e32 v15, 0xbf5db3d7, v60
	v_mul_f32_e32 v57, 0x3f5db3d7, v12
	v_mul_f32_e32 v58, -0.5, v29
	v_mul_f32_e32 v59, 0xbf5db3d7, v10
	v_mul_f32_e32 v60, -0.5, v30
	v_fmac_f32_e32 v19, 0.5, v41
	v_fmac_f32_e32 v21, 0.5, v42
	v_fmac_f32_e32 v20, 0x3f5db3d7, v22
	v_fmac_f32_e32 v32, 0xbf5db3d7, v39
	v_fmac_f32_e32 v33, 0.5, v9
	v_fmac_f32_e32 v37, 0.5, v11
	v_fmac_f32_e32 v36, 0x3f5db3d7, v28
	v_fmac_f32_e32 v45, 0xbf5db3d7, v27
	v_fmac_f32_e32 v57, 0.5, v10
	v_fmac_f32_e32 v58, 0x3f5db3d7, v30
	v_fmac_f32_e32 v59, 0.5, v12
	v_fmac_f32_e32 v60, 0xbf5db3d7, v29
	v_add_f32_e32 v9, v34, v19
	v_add_f32_e32 v10, v38, v21
	v_add_f32_e32 v11, v3, v20
	v_add_f32_e32 v12, v4, v32
	v_sub_f32_e32 v25, v34, v19
	v_sub_f32_e32 v27, v3, v20
	v_sub_f32_e32 v26, v38, v21
	v_sub_f32_e32 v28, v4, v32
	v_add_f32_e32 v19, v43, v33
	v_add_f32_e32 v20, v44, v37
	v_add_f32_e32 v21, v5, v36
	v_add_f32_e32 v22, v6, v45
	v_sub_f32_e32 v38, v43, v33
	v_sub_f32_e32 v40, v5, v36
	v_sub_f32_e32 v39, v44, v37
	v_sub_f32_e32 v41, v6, v45
	v_add_f32_e32 v52, v31, v57
	v_add_f32_e32 v46, v15, v58
	v_add_f32_e32 v53, v35, v59
	v_add_f32_e32 v47, v16, v60
	v_sub_f32_e32 v70, v31, v57
	v_sub_f32_e32 v72, v15, v58
	v_sub_f32_e32 v71, v35, v59
	v_sub_f32_e32 v73, v16, v60
	ds_write_b128 v106, v[7:10]
	ds_write_b128 v106, v[11:14] offset:16
	ds_write_b128 v106, v[25:28] offset:32
	ds_write_b128 v105, v[17:20]
	ds_write_b128 v105, v[21:24] offset:16
	ds_write_b128 v105, v[38:41] offset:32
	;; [unrolled: 3-line block ×3, first 2 shown]
	s_waitcnt lgkmcnt(0)
	s_barrier
	buffer_gl0_inv
	ds_read2_b64 v[42:45], v180 offset1:108
	ds_read2_b64 v[66:69], v56 offset0:88 offset1:196
	ds_read2_b64 v[62:65], v2 offset0:48 offset1:156
	;; [unrolled: 1-line block ×4, first 2 shown]
	ds_read_b64 v[80:81], v180 offset:8640
	s_and_saveexec_b32 s0, vcc_lo
	s_cbranch_execz .LBB0_3
; %bb.2:
	v_add_nc_u32_e32 v0, 0x1400, v180
	ds_read2_b64 v[2:5], v2 offset0:114 offset1:222
	ds_read2_b64 v[6:9], v1 offset0:26 offset1:134
	;; [unrolled: 1-line block ×4, first 2 shown]
	v_add_nc_u32_e32 v0, 0x1c00, v180
	ds_read_b64 v[82:83], v180 offset:9168
	ds_read2_b64 v[76:79], v0 offset0:34 offset1:142
	s_waitcnt lgkmcnt(5)
	v_mov_b32_e32 v70, v4
	v_mov_b32_e32 v71, v5
	v_mov_b32_e32 v48, v2
	v_mov_b32_e32 v49, v3
	s_waitcnt lgkmcnt(4)
	v_mov_b32_e32 v46, v8
	v_mov_b32_e32 v47, v9
	v_mov_b32_e32 v52, v6
	v_mov_b32_e32 v53, v7
	s_waitcnt lgkmcnt(3)
	v_mov_b32_e32 v50, v12
	v_mov_b32_e32 v51, v13
	v_mov_b32_e32 v40, v10
	v_mov_b32_e32 v41, v11
.LBB0_3:
	s_or_b32 exec_lo, exec_lo, s0
	v_and_b32_e32 v0, 0xff, v179
	v_and_b32_e32 v2, 0xff, v85
	v_mov_b32_e32 v1, 10
	v_mul_lo_u16 v0, 0xab, v0
	v_lshrrev_b16 v98, 10, v0
	v_mul_lo_u16 v0, v98, 6
	v_sub_nc_u16 v99, v179, v0
	v_mul_lo_u16 v0, 0xab, v2
	v_mul_u32_u24_sdwa v2, v99, v1 dst_sel:DWORD dst_unused:UNUSED_PAD src0_sel:BYTE_0 src1_sel:DWORD
	v_lshrrev_b16 v182, 10, v0
	v_lshlrev_b32_e32 v0, 3, v2
	v_mul_lo_u16 v2, v182, 6
	s_clause 0x1
	global_load_dwordx4 v[36:39], v0, s[14:15]
	global_load_dwordx4 v[32:35], v0, s[14:15] offset:16
	v_sub_nc_u16 v183, v85, v2
	s_clause 0x1
	global_load_dwordx4 v[28:31], v0, s[14:15] offset:32
	global_load_dwordx4 v[24:27], v0, s[14:15] offset:48
	v_mul_u32_u24_sdwa v1, v183, v1 dst_sel:DWORD dst_unused:UNUSED_PAD src0_sel:BYTE_0 src1_sel:DWORD
	v_lshlrev_b32_e32 v16, 3, v1
	s_clause 0x5
	global_load_dwordx4 v[20:23], v0, s[14:15] offset:64
	global_load_dwordx4 v[12:15], v16, s[14:15]
	global_load_dwordx4 v[4:7], v16, s[14:15] offset:16
	global_load_dwordx4 v[0:3], v16, s[14:15] offset:32
	;; [unrolled: 1-line block ×4, first 2 shown]
	s_waitcnt vmcnt(0) lgkmcnt(0)
	s_barrier
	buffer_gl0_inv
	v_mul_f32_e32 v112, v45, v37
	v_mul_f32_e32 v113, v44, v37
	;; [unrolled: 1-line block ×8, first 2 shown]
	v_fma_f32 v170, v44, v36, -v112
	v_fmac_f32_e32 v113, v45, v36
	v_mul_f32_e32 v115, v69, v33
	v_mul_f32_e32 v121, v57, v21
	;; [unrolled: 1-line block ×14, first 2 shown]
	v_fma_f32 v112, v66, v38, -v114
	v_fmac_f32_e32 v111, v67, v38
	v_fmac_f32_e32 v110, v69, v32
	v_fmac_f32_e32 v109, v63, v34
	v_fma_f32 v63, v64, v28, -v117
	v_fmac_f32_e32 v102, v55, v26
	v_fma_f32 v56, v56, v20, -v121
	v_fmac_f32_e32 v101, v57, v20
	;; [unrolled: 2-line block ×3, first 2 shown]
	v_add_f32_e32 v64, v42, v170
	v_add_f32_e32 v69, v43, v113
	v_mul_f32_e32 v107, v58, v31
	v_mul_f32_e32 v119, v61, v25
	;; [unrolled: 1-line block ×14, first 2 shown]
	v_fma_f32 v67, v68, v32, -v115
	v_fma_f32 v66, v62, v34, -v116
	v_fmac_f32_e32 v108, v65, v28
	v_fma_f32 v62, v58, v30, -v118
	v_fma_f32 v58, v54, v26, -v120
	v_fmac_f32_e32 v94, v49, v6
	v_fma_f32 v49, v70, v0, -v164
	v_fmac_f32_e32 v92, v73, v2
	v_fmac_f32_e32 v91, v75, v8
	v_fmac_f32_e32 v90, v77, v10
	v_sub_f32_e32 v70, v170, v55
	v_sub_f32_e32 v73, v113, v100
	v_add_f32_e32 v68, v112, v56
	v_add_f32_e32 v65, v111, v101
	v_sub_f32_e32 v75, v112, v56
	v_sub_f32_e32 v77, v111, v101
	v_add_f32_e32 v112, v64, v112
	v_add_f32_e32 v111, v69, v111
	v_mul_f32_e32 v96, v52, v15
	v_mul_f32_e32 v95, v46, v5
	;; [unrolled: 1-line block ×3, first 2 shown]
	v_fmac_f32_e32 v107, v59, v30
	v_fma_f32 v59, v60, v24, -v119
	v_fmac_f32_e32 v103, v61, v24
	v_fma_f32 v54, v50, v12, -v123
	;; [unrolled: 2-line block ×3, first 2 shown]
	v_fma_f32 v51, v46, v4, -v162
	v_fma_f32 v50, v48, v6, -v163
	v_fmac_f32_e32 v93, v71, v0
	v_fma_f32 v48, v72, v2, -v165
	v_fma_f32 v45, v78, v16, -v168
	v_fmac_f32_e32 v87, v79, v16
	v_add_f32_e32 v60, v170, v55
	v_add_f32_e32 v61, v113, v100
	;; [unrolled: 1-line block ×4, first 2 shown]
	v_sub_f32_e32 v78, v67, v58
	v_sub_f32_e32 v79, v110, v102
	v_mul_f32_e32 v117, 0xbf0a6770, v73
	v_mul_f32_e32 v118, 0xbf0a6770, v70
	;; [unrolled: 1-line block ×10, first 2 shown]
	v_add_f32_e32 v67, v112, v67
	v_add_f32_e32 v110, v111, v110
	v_mul_f32_e32 v86, v82, v19
	v_fmac_f32_e32 v95, v47, v4
	v_fma_f32 v47, v74, v8, -v166
	v_fma_f32 v46, v76, v10, -v167
	v_fma_f32 v44, v82, v18, -v169
	v_add_f32_e32 v81, v66, v59
	v_sub_f32_e32 v82, v66, v59
	v_mul_f32_e32 v164, 0xbf68dda4, v77
	v_mul_f32_e32 v165, 0xbf68dda4, v75
	;; [unrolled: 1-line block ×10, first 2 shown]
	v_fma_f32 v111, 0x3f575c64, v60, -v117
	v_fmamk_f32 v112, v61, 0x3f575c64, v118
	v_fmac_f32_e32 v117, 0x3f575c64, v60
	v_fma_f32 v118, 0x3f575c64, v61, -v118
	v_fma_f32 v203, 0x3ed4b147, v60, -v119
	v_fmamk_f32 v204, v61, 0x3ed4b147, v120
	v_fmac_f32_e32 v119, 0x3ed4b147, v60
	v_fma_f32 v120, 0x3ed4b147, v61, -v120
	;; [unrolled: 4-line block ×5, first 2 shown]
	v_add_f32_e32 v66, v67, v66
	v_add_f32_e32 v67, v110, v109
	v_sub_f32_e32 v80, v109, v103
	v_add_f32_e32 v114, v63, v62
	v_sub_f32_e32 v115, v63, v62
	v_mul_f32_e32 v174, 0xbf7d64f0, v79
	v_mul_f32_e32 v175, 0x3e903f40, v79
	v_mul_f32_e32 v176, 0x3f68dda4, v79
	v_mul_f32_e32 v177, 0xbf0a6770, v79
	v_mul_f32_e32 v79, 0xbf4178ce, v79
	v_mul_f32_e32 v178, 0xbf7d64f0, v78
	v_mul_f32_e32 v184, 0x3e903f40, v78
	v_mul_f32_e32 v185, 0x3f68dda4, v78
	v_mul_f32_e32 v186, 0xbf0a6770, v78
	v_mul_f32_e32 v78, 0xbf4178ce, v78
	v_fma_f32 v61, 0x3ed4b147, v68, -v164
	v_fmamk_f32 v163, v65, 0x3ed4b147, v165
	v_fmac_f32_e32 v164, 0x3ed4b147, v68
	v_fma_f32 v165, 0x3ed4b147, v65, -v165
	v_fma_f32 v211, 0xbf27a4f4, v68, -v166
	v_fmamk_f32 v212, v65, 0xbf27a4f4, v167
	v_fmac_f32_e32 v166, 0xbf27a4f4, v68
	v_fma_f32 v167, 0xbf27a4f4, v65, -v167
	;; [unrolled: 4-line block ×4, first 2 shown]
	v_fma_f32 v217, 0x3f575c64, v68, -v172
	v_fmac_f32_e32 v172, 0x3f575c64, v68
	v_fmamk_f32 v68, v65, 0x3f575c64, v173
	v_fma_f32 v65, 0x3f575c64, v65, -v173
	v_add_f32_e32 v111, v42, v111
	v_add_f32_e32 v112, v43, v112
	;; [unrolled: 1-line block ×22, first 2 shown]
	v_fmac_f32_e32 v86, v83, v18
	v_add_f32_e32 v83, v109, v103
	v_sub_f32_e32 v113, v108, v107
	v_add_f32_e32 v116, v108, v107
	v_mul_f32_e32 v187, 0xbf4178ce, v80
	v_mul_f32_e32 v188, 0x3f7d64f0, v80
	;; [unrolled: 1-line block ×10, first 2 shown]
	v_fma_f32 v173, 0xbe11bafb, v72, -v174
	v_fmac_f32_e32 v174, 0xbe11bafb, v72
	v_fma_f32 v218, 0xbf75a155, v72, -v175
	v_fmac_f32_e32 v175, 0xbf75a155, v72
	v_fma_f32 v219, 0x3ed4b147, v72, -v176
	v_fmac_f32_e32 v176, 0x3ed4b147, v72
	v_fma_f32 v220, 0x3f575c64, v72, -v177
	v_fmac_f32_e32 v177, 0x3f575c64, v72
	v_fma_f32 v221, 0xbf27a4f4, v72, -v79
	v_fmac_f32_e32 v79, 0xbf27a4f4, v72
	v_fmamk_f32 v72, v71, 0xbe11bafb, v178
	v_fma_f32 v178, 0xbe11bafb, v71, -v178
	v_fmamk_f32 v222, v71, 0xbf75a155, v184
	v_fma_f32 v184, 0xbf75a155, v71, -v184
	;; [unrolled: 2-line block ×5, first 2 shown]
	v_add_f32_e32 v61, v61, v111
	v_add_f32_e32 v66, v163, v112
	;; [unrolled: 1-line block ×14, first 2 shown]
	v_sub_f32_e32 v74, v97, v86
	v_sub_f32_e32 v76, v54, v44
	v_mul_f32_e32 v195, 0xbe903f40, v113
	v_mul_f32_e32 v196, 0x3f0a6770, v113
	;; [unrolled: 1-line block ×10, first 2 shown]
	v_fma_f32 v78, 0xbf27a4f4, v81, -v187
	v_fmac_f32_e32 v187, 0xbf27a4f4, v81
	v_fma_f32 v226, 0xbe11bafb, v81, -v188
	v_fmac_f32_e32 v188, 0xbe11bafb, v81
	;; [unrolled: 2-line block ×5, first 2 shown]
	v_fmamk_f32 v81, v83, 0xbf27a4f4, v191
	v_fma_f32 v191, 0xbf27a4f4, v83, -v191
	v_fmamk_f32 v233, v83, 0x3ed4b147, v82
	v_fma_f32 v82, 0x3ed4b147, v83, -v82
	v_add_f32_e32 v111, v212, v204
	v_add_f32_e32 v119, v214, v206
	;; [unrolled: 1-line block ×19, first 2 shown]
	v_fmac_f32_e32 v96, v53, v14
	v_add_f32_e32 v53, v54, v44
	v_add_f32_e32 v57, v97, v86
	v_mul_f32_e32 v75, 0xbf7d64f0, v74
	v_mul_f32_e32 v77, 0xbf7d64f0, v76
	v_fmamk_f32 v230, v83, 0xbe11bafb, v192
	v_fma_f32 v192, 0xbe11bafb, v83, -v192
	v_fmamk_f32 v231, v83, 0x3f575c64, v193
	v_fma_f32 v193, 0x3f575c64, v83, -v193
	;; [unrolled: 2-line block ×3, first 2 shown]
	v_fma_f32 v83, 0xbf75a155, v114, -v195
	v_fmac_f32_e32 v195, 0xbf75a155, v114
	v_fma_f32 v234, 0x3f575c64, v114, -v196
	v_fmac_f32_e32 v196, 0x3f575c64, v114
	;; [unrolled: 2-line block ×5, first 2 shown]
	v_fmamk_f32 v114, v116, 0xbf75a155, v199
	v_fma_f32 v199, 0xbf75a155, v116, -v199
	v_fmamk_f32 v241, v116, 0xbe11bafb, v115
	v_fma_f32 v115, 0xbe11bafb, v116, -v115
	v_add_f32_e32 v68, v68, v210
	v_add_f32_e32 v72, v222, v111
	;; [unrolled: 1-line block ×17, first 2 shown]
	v_mul_f32_e32 v64, 0xbf0a6770, v74
	v_mul_f32_e32 v70, 0xbf68dda4, v74
	v_fmamk_f32 v238, v116, 0x3f575c64, v200
	v_fma_f32 v200, 0x3f575c64, v116, -v200
	v_fmamk_f32 v239, v116, 0xbf27a4f4, v201
	v_add_f32_e32 v68, v225, v68
	v_add_f32_e32 v66, v226, v67
	;; [unrolled: 1-line block ×17, first 2 shown]
	v_fmamk_f32 v42, v53, 0xbe11bafb, v75
	v_fma_f32 v43, 0xbe11bafb, v57, -v77
	v_mul_f32_e32 v83, 0xbf4178ce, v74
	v_mul_f32_e32 v101, 0xbf4178ce, v76
	v_sub_f32_e32 v109, v96, v87
	v_mul_f32_e32 v69, 0xbf0a6770, v76
	v_mul_f32_e32 v73, 0xbf68dda4, v76
	v_fma_f32 v201, 0xbf27a4f4, v116, -v201
	v_fmamk_f32 v240, v116, 0x3ed4b147, v202
	v_fma_f32 v202, 0x3ed4b147, v116, -v202
	v_fmamk_f32 v116, v53, 0x3f575c64, v64
	v_fmamk_f32 v243, v53, 0x3ed4b147, v70
	v_add_f32_e32 v162, v216, v208
	v_add_f32_e32 v107, v228, v118
	;; [unrolled: 1-line block ×14, first 2 shown]
	v_fmamk_f32 v43, v53, 0xbf27a4f4, v83
	v_fma_f32 v66, 0xbf27a4f4, v57, -v101
	v_add_f32_e32 v42, v52, v45
	v_mul_f32_e32 v65, 0xbf68dda4, v109
	v_sub_f32_e32 v112, v52, v45
	v_mul_f32_e32 v71, 0xbf4178ce, v109
	v_mul_f32_e32 v79, 0x3e903f40, v109
	v_fma_f32 v242, 0x3f575c64, v57, -v69
	v_fma_f32 v244, 0x3ed4b147, v57, -v73
	v_add_f32_e32 v110, v40, v116
	v_add_f32_e32 v119, v224, v162
	;; [unrolled: 1-line block ×13, first 2 shown]
	v_fmamk_f32 v68, v42, 0x3ed4b147, v65
	v_mul_f32_e32 v66, 0xbf68dda4, v112
	v_mul_f32_e32 v78, 0xbf4178ce, v112
	v_fmamk_f32 v81, v42, 0xbf27a4f4, v71
	v_fmamk_f32 v107, v42, 0xbf75a155, v79
	v_mul_f32_e32 v103, 0x3e903f40, v112
	v_add_f32_e32 v116, v41, v242
	v_add_f32_e32 v108, v232, v119
	;; [unrolled: 1-line block ×5, first 2 shown]
	v_fma_f32 v68, 0x3ed4b147, v43, -v66
	v_fma_f32 v102, 0xbf27a4f4, v43, -v78
	v_add_f32_e32 v110, v81, v55
	v_add_f32_e32 v115, v107, v67
	v_fma_f32 v81, 0xbf75a155, v43, -v103
	v_mul_f32_e32 v107, 0x3f7d64f0, v109
	v_sub_f32_e32 v114, v95, v90
	v_mul_f32_e32 v111, 0x3f7d64f0, v112
	v_add_f32_e32 v188, v240, v108
	v_add_f32_e32 v108, v68, v116
	;; [unrolled: 1-line block ×3, first 2 shown]
	v_sub_f32_e32 v116, v51, v46
	v_add_f32_e32 v55, v51, v46
	v_mul_f32_e32 v67, 0xbf7d64f0, v114
	v_fmamk_f32 v102, v42, 0xbe11bafb, v107
	v_add_f32_e32 v119, v81, v72
	v_fma_f32 v72, 0xbe11bafb, v43, -v111
	v_mul_f32_e32 v81, 0x3e903f40, v114
	v_add_f32_e32 v56, v95, v90
	v_mul_f32_e32 v68, 0xbf7d64f0, v116
	v_fmamk_f32 v120, v55, 0xbe11bafb, v67
	v_add_f32_e32 v161, v102, v80
	v_add_f32_e32 v162, v72, v82
	v_fmamk_f32 v80, v55, 0xbf75a155, v81
	v_mul_f32_e32 v102, 0x3f68dda4, v114
	v_mov_b32_e32 v72, 0x42
	v_fma_f32 v121, 0xbe11bafb, v56, -v68
	v_add_f32_e32 v163, v120, v100
	v_mul_f32_e32 v120, 0x3f68dda4, v116
	v_add_f32_e32 v167, v80, v110
	v_fmamk_f32 v80, v55, 0x3ed4b147, v102
	v_mul_u32_u24_sdwa v98, v98, v72 dst_sel:DWORD dst_unused:UNUSED_PAD src0_sel:WORD_0 src1_sel:DWORD
	v_add_f32_e32 v166, v121, v108
	v_mul_f32_e32 v100, 0x3e903f40, v116
	v_fma_f32 v108, 0x3ed4b147, v56, -v120
	v_mul_f32_e32 v122, 0xbf0a6770, v114
	v_add_f32_e32 v115, v80, v115
	v_add_nc_u32_sdwa v80, v98, v99 dst_sel:DWORD dst_unused:UNUSED_PAD src0_sel:DWORD src1_sel:BYTE_0
	v_sub_f32_e32 v164, v94, v91
	v_fma_f32 v82, 0xbf75a155, v56, -v100
	v_add_f32_e32 v169, v108, v119
	v_fmamk_f32 v98, v55, 0x3f575c64, v122
	v_sub_f32_e32 v165, v50, v47
	v_lshl_add_u32 v184, v80, 3, v181
	v_add_f32_e32 v80, v50, v47
	v_mul_f32_e32 v108, 0xbf4178ce, v164
	v_mul_f32_e32 v121, 0xbf0a6770, v164
	v_add_f32_e32 v113, v82, v113
	v_mul_f32_e32 v123, 0xbf0a6770, v116
	ds_write2_b64 v184, v[117:118], v[58:59] offset1:6
	v_add_f32_e32 v82, v94, v91
	v_mul_f32_e32 v110, 0xbf4178ce, v165
	v_add_f32_e32 v58, v98, v161
	ds_write2_b64 v184, v[60:61], v[62:63] offset0:12 offset1:18
	v_fmamk_f32 v60, v80, 0xbf27a4f4, v108
	v_mul_f32_e32 v117, 0x3f7d64f0, v164
	v_mul_f32_e32 v119, 0x3f7d64f0, v165
	v_fmamk_f32 v98, v80, 0x3f575c64, v121
	v_sub_f32_e32 v172, v49, v48
	v_fma_f32 v59, 0x3f575c64, v56, -v123
	v_fma_f32 v61, 0xbf27a4f4, v82, -v110
	v_fmamk_f32 v62, v80, 0xbe11bafb, v117
	v_add_f32_e32 v60, v60, v163
	v_fma_f32 v63, 0xbe11bafb, v82, -v119
	v_mul_f32_e32 v163, 0xbf0a6770, v165
	v_add_f32_e32 v195, v98, v115
	v_sub_f32_e32 v168, v93, v92
	v_add_f32_e32 v99, v93, v92
	v_mul_f32_e32 v115, 0xbe903f40, v172
	v_add_f32_e32 v59, v59, v162
	v_add_f32_e32 v61, v61, v166
	;; [unrolled: 1-line block ×4, first 2 shown]
	v_fma_f32 v162, 0x3f575c64, v82, -v163
	v_add_f32_e32 v98, v49, v48
	v_mul_f32_e32 v113, 0xbe903f40, v168
	v_mul_f32_e32 v118, 0x3f0a6770, v168
	v_fma_f32 v167, 0xbf75a155, v99, -v115
	v_add_f32_e32 v196, v162, v169
	v_mul_f32_e32 v169, 0xbe903f40, v165
	v_fmamk_f32 v166, v98, 0xbf75a155, v113
	v_fmamk_f32 v170, v98, 0x3f575c64, v118
	v_add_f32_e32 v178, v167, v61
	v_mul_f32_e32 v167, 0xbe903f40, v164
	v_mul_f32_e32 v161, 0x3f0a6770, v172
	;; [unrolled: 1-line block ×3, first 2 shown]
	v_add_f32_e32 v177, v166, v60
	v_add_f32_e32 v62, v170, v62
	v_mul_f32_e32 v166, 0xbf4178ce, v172
	v_fmamk_f32 v61, v80, 0xbf75a155, v167
	v_fma_f32 v198, 0xbf75a155, v82, -v169
	v_mul_f32_e32 v170, 0x3f68dda4, v168
	v_mul_f32_e32 v171, 0x3f68dda4, v172
	v_fma_f32 v197, 0x3f575c64, v99, -v161
	v_fmamk_f32 v60, v98, 0xbf27a4f4, v162
	v_fma_f32 v199, 0xbf27a4f4, v99, -v166
	v_add_f32_e32 v58, v61, v58
	v_add_f32_e32 v59, v198, v59
	v_fmamk_f32 v198, v98, 0x3ed4b147, v170
	v_fma_f32 v200, 0x3ed4b147, v99, -v171
	v_add_f32_e32 v63, v197, v63
	v_add_f32_e32 v60, v60, v195
	;; [unrolled: 1-line block ×5, first 2 shown]
	ds_write2_b64 v184, v[187:188], v[191:192] offset0:24 offset1:30
	ds_write2_b64 v184, v[193:194], v[189:190] offset0:36 offset1:42
	;; [unrolled: 1-line block ×3, first 2 shown]
	ds_write_b64 v184, v[173:174] offset:480
	s_and_saveexec_b32 s0, vcc_lo
	s_cbranch_execz .LBB0_5
; %bb.4:
	v_mul_f32_e32 v213, 0xbe903f40, v76
	v_mul_f32_e32 v218, 0x3f0a6770, v112
	;; [unrolled: 1-line block ×5, first 2 shown]
	v_fmamk_f32 v76, v57, 0xbf75a155, v213
	v_mul_f32_e32 v165, 0x3f68dda4, v165
	v_fma_f32 v112, 0xbf75a155, v53, -v221
	v_mul_f32_e32 v114, 0xbf4178ce, v114
	v_fma_f32 v223, 0x3f575c64, v42, -v109
	v_add_f32_e32 v74, v41, v76
	v_fmamk_f32 v76, v43, 0x3f575c64, v218
	v_add_f32_e32 v112, v40, v112
	v_mul_f32_e32 v188, 0xbf27a4f4, v57
	v_mul_f32_e32 v172, 0xbf7d64f0, v172
	;; [unrolled: 1-line block ×3, first 2 shown]
	v_add_f32_e32 v74, v76, v74
	v_fmamk_f32 v76, v56, 0xbf27a4f4, v116
	v_add_f32_e32 v112, v223, v112
	v_fma_f32 v223, 0xbf27a4f4, v55, -v114
	v_mul_f32_e32 v187, 0xbf27a4f4, v53
	v_mul_f32_e32 v196, 0xbe11bafb, v43
	v_add_f32_e32 v74, v76, v74
	v_fmamk_f32 v76, v82, 0x3ed4b147, v165
	v_add_f32_e32 v223, v223, v112
	v_fma_f32 v225, 0x3ed4b147, v80, -v164
	v_mul_f32_e32 v168, 0xbf7d64f0, v168
	v_add_f32_e32 v101, v101, v188
	v_add_f32_e32 v74, v76, v74
	v_fmamk_f32 v76, v99, 0xbe11bafb, v172
	v_mul_f32_e32 v186, 0xbe11bafb, v57
	v_mul_f32_e32 v204, 0x3f575c64, v56
	v_add_f32_e32 v101, v41, v101
	v_mul_f32_e32 v194, 0xbf75a155, v43
	v_add_f32_e32 v112, v76, v74
	v_sub_f32_e32 v74, v187, v83
	v_add_f32_e32 v76, v225, v223
	v_fma_f32 v83, 0xbe11bafb, v98, -v168
	v_add_f32_e32 v187, v111, v196
	v_mul_f32_e32 v212, 0xbf75a155, v82
	v_mul_f32_e32 v202, 0x3ed4b147, v56
	;; [unrolled: 1-line block ×3, first 2 shown]
	v_add_f32_e32 v111, v83, v76
	v_add_f32_e32 v76, v77, v186
	;; [unrolled: 1-line block ×5, first 2 shown]
	v_mul_f32_e32 v185, 0xbe11bafb, v53
	v_add_f32_e32 v76, v41, v76
	v_mul_f32_e32 v176, 0x3ed4b147, v57
	v_add_f32_e32 v77, v83, v77
	v_add_f32_e32 v83, v169, v212
	v_mul_f32_e32 v193, 0xbf75a155, v42
	v_add_f32_e32 v76, v103, v76
	;; [unrolled: 3-line block ×4, first 2 shown]
	v_mul_f32_e32 v201, 0x3ed4b147, v55
	v_add_f32_e32 v73, v73, v176
	v_add_f32_e32 v76, v83, v77
	v_sub_f32_e32 v77, v185, v75
	v_sub_f32_e32 v79, v193, v79
	v_mul_f32_e32 v191, 0xbf27a4f4, v42
	v_mul_f32_e32 v200, 0xbf75a155, v56
	;; [unrolled: 1-line block ×3, first 2 shown]
	v_add_f32_e32 v77, v40, v77
	v_add_f32_e32 v73, v41, v73
	;; [unrolled: 1-line block ×3, first 2 shown]
	v_sub_f32_e32 v70, v175, v70
	v_mul_f32_e32 v199, 0xbf75a155, v55
	v_add_f32_e32 v77, v79, v77
	v_sub_f32_e32 v79, v201, v102
	v_mul_f32_e32 v208, 0xbe11bafb, v82
	v_mul_f32_e32 v219, 0xbf27a4f4, v98
	v_add_f32_e32 v73, v78, v73
	v_add_f32_e32 v78, v100, v200
	;; [unrolled: 1-line block ×3, first 2 shown]
	v_sub_f32_e32 v71, v191, v71
	v_add_f32_e32 v77, v79, v77
	v_sub_f32_e32 v79, v209, v121
	v_mul_f32_e32 v174, 0x3f575c64, v57
	v_mul_f32_e32 v207, 0xbe11bafb, v80
	v_add_f32_e32 v73, v78, v73
	v_add_f32_e32 v78, v119, v208
	;; [unrolled: 1-line block ×3, first 2 shown]
	v_sub_f32_e32 v71, v199, v81
	v_add_f32_e32 v77, v79, v77
	v_sub_f32_e32 v79, v219, v162
	v_mul_f32_e32 v190, 0x3ed4b147, v43
	v_add_f32_e32 v78, v78, v73
	v_add_f32_e32 v70, v71, v70
	v_sub_f32_e32 v71, v207, v117
	v_add_f32_e32 v73, v79, v77
	v_add_f32_e32 v77, v69, v174
	v_mul_f32_e32 v173, 0x3f575c64, v53
	v_mul_f32_e32 v198, 0xbe11bafb, v56
	v_add_f32_e32 v79, v41, v97
	v_add_f32_e32 v70, v71, v70
	;; [unrolled: 1-line block ×5, first 2 shown]
	v_mul_f32_e32 v189, 0x3ed4b147, v42
	v_mul_f32_e32 v206, 0xbf27a4f4, v82
	v_sub_f32_e32 v64, v173, v64
	v_add_f32_e32 v77, v79, v96
	v_add_f32_e32 v66, v66, v71
	;; [unrolled: 1-line block ×4, first 2 shown]
	v_mul_f32_e32 v215, 0xbf75a155, v99
	v_add_f32_e32 v64, v40, v64
	v_sub_f32_e32 v65, v189, v65
	v_add_f32_e32 v77, v77, v95
	v_add_f32_e32 v54, v68, v66
	;; [unrolled: 1-line block ×4, first 2 shown]
	v_mul_f32_e32 v197, 0xbe11bafb, v55
	v_add_f32_e32 v64, v65, v64
	v_add_f32_e32 v65, v77, v94
	;; [unrolled: 1-line block ×5, first 2 shown]
	v_mul_f32_e32 v195, 0xbe11bafb, v42
	v_mul_f32_e32 v205, 0xbf27a4f4, v80
	v_sub_f32_e32 v67, v197, v67
	v_add_f32_e32 v65, v65, v93
	v_add_f32_e32 v50, v66, v54
	;; [unrolled: 1-line block ×3, first 2 shown]
	v_fma_f32 v54, 0xbf75a155, v57, -v213
	v_mul_f32_e32 v203, 0x3f575c64, v55
	v_add_f32_e32 v74, v40, v74
	v_sub_f32_e32 v107, v195, v107
	v_fmac_f32_e32 v221, 0xbf75a155, v53
	v_mul_f32_e32 v214, 0xbf75a155, v98
	v_add_f32_e32 v64, v67, v64
	v_sub_f32_e32 v52, v205, v108
	v_add_f32_e32 v65, v65, v92
	v_add_f32_e32 v48, v51, v48
	v_add_f32_e32 v41, v41, v54
	v_fma_f32 v43, 0x3f575c64, v43, -v218
	v_mul_f32_e32 v211, 0xbf75a155, v80
	v_add_f32_e32 v74, v107, v74
	v_sub_f32_e32 v101, v203, v122
	v_add_f32_e32 v40, v40, v221
	v_fmac_f32_e32 v109, 0x3f575c64, v42
	v_add_f32_e32 v52, v52, v64
	v_sub_f32_e32 v64, v214, v113
	v_add_f32_e32 v65, v65, v91
	v_add_f32_e32 v42, v48, v47
	;; [unrolled: 1-line block ×3, first 2 shown]
	v_fma_f32 v47, 0xbf27a4f4, v56, -v116
	v_mul_f32_e32 v210, 0x3f575c64, v82
	v_mul_f32_e32 v217, 0x3f575c64, v99
	;; [unrolled: 1-line block ×3, first 2 shown]
	v_add_f32_e32 v74, v101, v74
	v_sub_f32_e32 v101, v211, v167
	v_add_f32_e32 v40, v109, v40
	v_fmac_f32_e32 v114, 0xbf27a4f4, v55
	v_add_f32_e32 v49, v64, v52
	v_add_f32_e32 v52, v65, v90
	;; [unrolled: 1-line block ×4, first 2 shown]
	v_mul_u32_u24_sdwa v47, v182, v72 dst_sel:DWORD dst_unused:UNUSED_PAD src0_sel:WORD_0 src1_sel:DWORD
	v_mul_f32_e32 v216, 0x3f575c64, v98
	v_mul_f32_e32 v220, 0xbf27a4f4, v99
	v_add_f32_e32 v74, v101, v74
	v_sub_f32_e32 v101, v222, v170
	v_add_f32_e32 v107, v163, v210
	v_add_f32_e32 v81, v161, v217
	v_fma_f32 v46, 0x3ed4b147, v82, -v165
	v_add_f32_e32 v40, v114, v40
	v_fmac_f32_e32 v164, 0x3ed4b147, v80
	v_add_f32_e32 v51, v52, v87
	v_add_f32_e32 v42, v42, v45
	v_add_nc_u32_sdwa v45, v47, v183 dst_sel:DWORD dst_unused:UNUSED_PAD src0_sel:DWORD src1_sel:BYTE_0
	v_add_f32_e32 v75, v101, v74
	v_add_f32_e32 v74, v107, v103
	;; [unrolled: 1-line block ×4, first 2 shown]
	v_sub_f32_e32 v78, v216, v118
	v_add_f32_e32 v43, v46, v43
	v_fma_f32 v46, 0xbe11bafb, v99, -v172
	v_add_f32_e32 v47, v164, v40
	v_fmac_f32_e32 v168, 0xbe11bafb, v98
	v_add_f32_e32 v41, v51, v86
	v_add_f32_e32 v40, v42, v44
	v_lshl_add_u32 v44, v45, 3, v181
	v_add_f32_e32 v74, v83, v74
	v_add_f32_e32 v68, v78, v70
	;; [unrolled: 1-line block ×4, first 2 shown]
	ds_write2_b64 v44, v[40:41], v[49:50] offset1:6
	ds_write2_b64 v44, v[68:69], v[73:74] offset0:12 offset1:18
	ds_write2_b64 v44, v[75:76], v[111:112] offset0:24 offset1:30
	;; [unrolled: 1-line block ×4, first 2 shown]
	ds_write_b64 v44, v[177:178] offset:480
.LBB0_5:
	s_or_b32 exec_lo, exec_lo, s0
	v_and_b32_e32 v40, 0xff, v84
	v_add_co_u32 v64, null, 0xc6, v179
	v_mov_b32_e32 v41, 0xf83f
	v_add_co_u32 v66, null, 0x108, v179
	v_mul_lo_u16 v40, 0xf9, v40
	v_mov_b32_e32 v45, 3
	v_mul_u32_u24_sdwa v43, v64, v41 dst_sel:DWORD dst_unused:UNUSED_PAD src0_sel:WORD_0 src1_sel:DWORD
	v_mul_u32_u24_sdwa v48, v66, v41 dst_sel:DWORD dst_unused:UNUSED_PAD src0_sel:WORD_0 src1_sel:DWORD
	v_add_co_u32 v65, null, 0x14a, v179
	v_lshrrev_b16 v40, 14, v40
	v_lshrrev_b32_e32 v43, 22, v43
	v_add_nc_u32_e32 v42, 0x18c, v179
	v_lshlrev_b32_e32 v91, 3, v179
	v_add_nc_u32_e32 v44, 0x1ce, v179
	v_mul_lo_u16 v40, 0x42, v40
	v_mul_lo_u16 v43, 0x42, v43
	v_add_nc_u32_e32 v46, 0x210, v179
	v_mul_u32_u24_sdwa v52, v65, v41 dst_sel:DWORD dst_unused:UNUSED_PAD src0_sel:WORD_0 src1_sel:DWORD
	s_waitcnt lgkmcnt(0)
	v_sub_nc_u16 v40, v84, v40
	v_sub_nc_u16 v43, v64, v43
	s_barrier
	buffer_gl0_inv
	global_load_dwordx2 v[161:162], v91, s[14:15] offset:480
	v_lshlrev_b32_sdwa v83, v45, v40 dst_sel:DWORD dst_unused:UNUSED_PAD src0_sel:DWORD src1_sel:BYTE_0
	v_lshrrev_b32_e32 v40, 22, v48
	v_mul_u32_u24_sdwa v47, v42, v41 dst_sel:DWORD dst_unused:UNUSED_PAD src0_sel:WORD_0 src1_sel:DWORD
	v_mul_u32_u24_sdwa v49, v44, v41 dst_sel:DWORD dst_unused:UNUSED_PAD src0_sel:WORD_0 src1_sel:DWORD
	;; [unrolled: 1-line block ×3, first 2 shown]
	v_lshlrev_b32_sdwa v86, v45, v43 dst_sel:DWORD dst_unused:UNUSED_PAD src0_sel:DWORD src1_sel:WORD_0
	v_mul_lo_u16 v40, 0x42, v40
	v_lshrrev_b32_e32 v43, 22, v52
	v_lshrrev_b32_e32 v47, 22, v47
	;; [unrolled: 1-line block ×4, first 2 shown]
	v_sub_nc_u16 v40, v66, v40
	v_mul_lo_u16 v43, 0x42, v43
	v_mul_lo_u16 v47, 0x42, v47
	;; [unrolled: 1-line block ×3, first 2 shown]
	s_clause 0x1
	global_load_dwordx2 v[175:176], v83, s[14:15] offset:480
	global_load_dwordx2 v[171:172], v86, s[14:15] offset:480
	v_lshlrev_b32_sdwa v87, v45, v40 dst_sel:DWORD dst_unused:UNUSED_PAD src0_sel:DWORD src1_sel:WORD_0
	v_mul_lo_u16 v40, 0x42, v41
	v_sub_nc_u16 v43, v65, v43
	v_sub_nc_u16 v41, v42, v47
	;; [unrolled: 1-line block ×3, first 2 shown]
	global_load_dwordx2 v[173:174], v87, s[14:15] offset:480
	v_sub_nc_u16 v40, v46, v40
	v_lshlrev_b32_sdwa v96, v45, v43 dst_sel:DWORD dst_unused:UNUSED_PAD src0_sel:DWORD src1_sel:WORD_0
	v_lshlrev_b32_sdwa v97, v45, v41 dst_sel:DWORD dst_unused:UNUSED_PAD src0_sel:DWORD src1_sel:WORD_0
	;; [unrolled: 1-line block ×3, first 2 shown]
	v_add_nc_u32_e32 v108, 0x1000, v180
	v_lshlrev_b32_sdwa v99, v45, v40 dst_sel:DWORD dst_unused:UNUSED_PAD src0_sel:DWORD src1_sel:WORD_0
	s_clause 0x3
	global_load_dwordx2 v[169:170], v96, s[14:15] offset:480
	global_load_dwordx2 v[167:168], v97, s[14:15] offset:480
	;; [unrolled: 1-line block ×4, first 2 shown]
	v_lshrrev_b32_e32 v53, 23, v48
	v_add_nc_u32_e32 v57, 0x1800, v180
	v_add_nc_u32_e32 v56, 0x800, v180
	ds_read2_b64 v[48:51], v108 offset0:16 offset1:82
	ds_read2_b64 v[40:43], v180 offset1:66
	ds_read2_b64 v[44:47], v180 offset0:132 offset1:198
	v_lshrrev_b32_e32 v75, 23, v52
	v_mul_lo_u16 v76, 0x84, v53
	ds_read2_b64 v[52:55], v108 offset0:148 offset1:214
	ds_read2_b64 v[67:70], v57 offset0:24 offset1:90
	;; [unrolled: 1-line block ×3, first 2 shown]
	v_add_nc_u32_e32 v190, v181, v86
	v_add_nc_u32_e32 v189, v181, v87
	;; [unrolled: 1-line block ×5, first 2 shown]
	v_mul_lo_u16 v101, 0x84, v75
	v_sub_nc_u16 v102, v66, v76
	ds_read2_b64 v[75:78], v57 offset0:156 offset1:222
	ds_read2_b64 v[79:82], v56 offset0:140 offset1:206
	;; [unrolled: 1-line block ×3, first 2 shown]
	s_waitcnt vmcnt(0) lgkmcnt(0)
	s_barrier
	buffer_gl0_inv
	v_add_nc_u32_e32 v191, v181, v83
	v_sub_nc_u16 v101, v65, v101
	v_add_nc_u32_e32 v186, v181, v98
	v_add_nc_u32_e32 v185, v181, v99
	;; [unrolled: 1-line block ×4, first 2 shown]
	v_lshlrev_b16 v103, 4, v102
	v_lshlrev_b32_e32 v100, 4, v179
	v_add_nc_u32_e32 v99, 0x2000, v185
	v_lshlrev_b32_e32 v85, 4, v85
	v_lshlrev_b32_e32 v64, 4, v64
	;; [unrolled: 1-line block ×3, first 2 shown]
	v_mul_f32_e32 v86, v51, v162
	v_mul_f32_e32 v87, v50, v162
	;; [unrolled: 1-line block ×4, first 2 shown]
	v_fma_f32 v50, v50, v161, -v86
	v_fmac_f32_e32 v87, v51, v161
	v_fma_f32 v52, v52, v161, -v96
	v_fmac_f32_e32 v97, v53, v161
	v_add_nc_u32_e32 v86, 0x1000, v189
	v_sub_f32_e32 v50, v40, v50
	v_sub_f32_e32 v51, v41, v87
	;; [unrolled: 1-line block ×4, first 2 shown]
	v_add_nc_u32_e32 v87, 0x1000, v188
	v_fma_f32 v40, v40, 2.0, -v50
	v_fma_f32 v41, v41, 2.0, -v51
	;; [unrolled: 1-line block ×4, first 2 shown]
	ds_write2_b64 v180, v[40:41], v[50:51] offset1:66
	ds_write2_b64 v180, v[42:43], v[52:53] offset0:132 offset1:198
	v_mul_f32_e32 v40, v55, v176
	v_mul_f32_e32 v41, v54, v176
	;; [unrolled: 1-line block ×6, first 2 shown]
	v_fma_f32 v40, v54, v175, -v40
	v_mul_f32_e32 v52, v76, v170
	v_mul_f32_e32 v53, v75, v170
	;; [unrolled: 1-line block ×8, first 2 shown]
	v_fmac_f32_e32 v41, v55, v175
	v_fma_f32 v42, v67, v171, -v42
	v_fmac_f32_e32 v43, v68, v171
	v_fma_f32 v50, v69, v173, -v50
	;; [unrolled: 2-line block ×6, first 2 shown]
	v_fmac_f32_e32 v113, v95, v163
	v_sub_f32_e32 v40, v44, v40
	v_sub_f32_e32 v41, v45, v41
	;; [unrolled: 1-line block ×14, first 2 shown]
	v_fma_f32 v44, v44, 2.0, -v40
	v_fma_f32 v45, v45, 2.0, -v41
	;; [unrolled: 1-line block ×8, first 2 shown]
	v_add_nc_u32_e32 v96, 0x1800, v187
	v_fma_f32 v75, v79, 2.0, -v54
	v_fma_f32 v76, v80, 2.0, -v55
	v_add_nc_u32_e32 v97, 0x1800, v186
	v_fma_f32 v77, v81, 2.0, -v67
	v_fma_f32 v78, v82, 2.0, -v68
	;; [unrolled: 1-line block ×4, first 2 shown]
	ds_write2_b64 v83, v[44:45], v[40:41] offset0:8 offset1:74
	ds_write2_b64 v98, v[46:47], v[42:43] offset0:140 offset1:206
	;; [unrolled: 1-line block ×7, first 2 shown]
	v_lshlrev_b16 v40, 4, v101
	v_and_b32_e32 v41, 0xffff, v103
	s_waitcnt lgkmcnt(0)
	s_barrier
	buffer_gl0_inv
	v_and_b32_e32 v42, 0xffff, v40
	v_add_co_u32 v40, s0, s14, v41
	v_add_co_ci_u32_e64 v41, null, s15, 0, s0
	v_add_co_u32 v42, s0, s14, v42
	v_add_co_ci_u32_e64 v43, null, s15, 0, s0
	s_clause 0x3
	global_load_dwordx4 v[52:55], v100, s[14:15] offset:1008
	global_load_dwordx4 v[48:51], v85, s[14:15] offset:1008
	global_load_dwordx4 v[44:47], v[40:41], off offset:1008
	global_load_dwordx4 v[40:43], v[42:43], off offset:1008
	v_lshlrev_b32_e32 v67, 4, v84
	v_add_co_u32 v68, s0, s14, v100
	v_add_co_ci_u32_e64 v69, null, s15, 0, s0
	v_add_co_u32 v70, s0, s14, v85
	v_add_co_ci_u32_e64 v71, null, s15, 0, s0
	;; [unrolled: 2-line block ×3, first 2 shown]
	v_add_co_u32 v109, s0, 0x800, v68
	v_add_co_ci_u32_e64 v110, s0, 0, v69, s0
	v_add_co_u32 v111, s0, 0x800, v70
	v_add_co_ci_u32_e64 v112, s0, 0, v71, s0
	v_add_co_u32 v113, s0, 0x800, v67
	v_and_b32_e32 v68, 0xffff, v102
	v_lshlrev_b32_e32 v73, 4, v65
	v_add_co_ci_u32_e64 v114, s0, 0, v72, s0
	v_and_b32_e32 v72, 0xffff, v101
	v_add_co_u32 v107, s0, s14, v64
	v_add_co_ci_u32_e64 v115, null, s15, 0, s0
	v_add_co_u32 v116, s0, s14, v66
	ds_read2_b64 v[64:67], v56 offset0:140 offset1:206
	v_lshl_add_u32 v193, v68, 3, v181
	ds_read2_b64 v[68:71], v57 offset0:24 offset1:90
	v_add_co_ci_u32_e64 v117, null, s15, 0, s0
	v_lshl_add_u32 v192, v72, 3, v181
	v_add_co_u32 v118, s0, s14, v73
	ds_read2_b64 v[72:75], v108 offset0:16 offset1:82
	ds_read2_b64 v[76:79], v57 offset0:156 offset1:222
	ds_read2_b64 v[80:83], v180 offset1:66
	ds_read2_b64 v[84:87], v180 offset0:132 offset1:198
	ds_read2_b64 v[92:95], v56 offset0:8 offset1:74
	;; [unrolled: 1-line block ×4, first 2 shown]
	v_add_co_ci_u32_e64 v119, null, s15, 0, s0
	v_add_nc_u32_e32 v120, 0x1800, v193
	v_add_nc_u32_e32 v121, 0x1800, v192
	s_waitcnt vmcnt(0) lgkmcnt(0)
	s_barrier
	buffer_gl0_inv
	v_mul_f32_e32 v122, v65, v53
	v_mul_f32_e32 v123, v64, v53
	;; [unrolled: 1-line block ×24, first 2 shown]
	v_fma_f32 v64, v64, v52, -v122
	v_fmac_f32_e32 v123, v65, v52
	v_fma_f32 v65, v68, v54, -v194
	v_fmac_f32_e32 v195, v69, v54
	;; [unrolled: 2-line block ×12, first 2 shown]
	v_add_f32_e32 v75, v64, v65
	v_add_f32_e32 v78, v123, v195
	;; [unrolled: 1-line block ×5, first 2 shown]
	v_sub_f32_e32 v97, v123, v195
	v_add_f32_e32 v77, v81, v123
	v_sub_f32_e32 v100, v197, v199
	v_add_f32_e32 v101, v83, v197
	v_add_f32_e32 v123, v67, v70
	v_sub_f32_e32 v194, v201, v203
	v_add_f32_e32 v196, v85, v201
	v_add_f32_e32 v197, v201, v203
	;; [unrolled: 1-line block ×3, first 2 shown]
	v_sub_f32_e32 v202, v205, v207
	v_add_f32_e32 v204, v87, v205
	v_add_f32_e32 v205, v205, v207
	;; [unrolled: 1-line block ×4, first 2 shown]
	v_sub_f32_e32 v212, v209, v211
	v_add_f32_e32 v214, v93, v209
	v_add_f32_e32 v209, v209, v211
	;; [unrolled: 1-line block ×3, first 2 shown]
	v_sub_f32_e32 v219, v213, v215
	v_add_f32_e32 v220, v95, v213
	v_add_f32_e32 v213, v213, v215
	;; [unrolled: 1-line block ×4, first 2 shown]
	v_sub_f32_e32 v98, v64, v65
	v_sub_f32_e32 v103, v66, v68
	;; [unrolled: 1-line block ×3, first 2 shown]
	v_fma_f32 v66, -0.5, v75, v80
	v_fma_f32 v67, -0.5, v78, v81
	;; [unrolled: 1-line block ×3, first 2 shown]
	v_fmac_f32_e32 v83, -0.5, v102
	v_sub_f32_e32 v206, v69, v74
	v_add_f32_e32 v217, v94, v72
	v_sub_f32_e32 v221, v72, v96
	v_add_f32_e32 v64, v73, v65
	v_fma_f32 v72, -0.5, v123, v84
	v_fma_f32 v73, -0.5, v197, v85
	;; [unrolled: 1-line block ×3, first 2 shown]
	v_fmac_f32_e32 v87, -0.5, v205
	v_add_f32_e32 v208, v92, v71
	v_sub_f32_e32 v216, v71, v76
	v_add_f32_e32 v65, v77, v195
	v_add_f32_e32 v68, v79, v68
	;; [unrolled: 1-line block ×3, first 2 shown]
	v_fma_f32 v78, -0.5, v210, v92
	v_fma_f32 v79, -0.5, v209, v93
	;; [unrolled: 1-line block ×3, first 2 shown]
	v_fmac_f32_e32 v95, -0.5, v213
	v_add_f32_e32 v70, v122, v70
	v_add_f32_e32 v71, v196, v203
	;; [unrolled: 1-line block ×4, first 2 shown]
	v_fmamk_f32 v84, v97, 0x3f5db3d7, v66
	v_fmamk_f32 v85, v98, 0xbf5db3d7, v67
	v_fmamk_f32 v92, v100, 0x3f5db3d7, v82
	v_fmamk_f32 v93, v103, 0xbf5db3d7, v83
	v_fmac_f32_e32 v66, 0xbf5db3d7, v97
	v_fmac_f32_e32 v67, 0x3f5db3d7, v98
	;; [unrolled: 1-line block ×4, first 2 shown]
	v_add_f32_e32 v80, v217, v96
	v_fmamk_f32 v96, v194, 0x3f5db3d7, v72
	v_fmamk_f32 v97, v198, 0xbf5db3d7, v73
	;; [unrolled: 1-line block ×4, first 2 shown]
	v_add_f32_e32 v76, v208, v76
	v_add_f32_e32 v77, v214, v211
	;; [unrolled: 1-line block ×3, first 2 shown]
	v_fmac_f32_e32 v72, 0xbf5db3d7, v194
	v_fmac_f32_e32 v73, 0x3f5db3d7, v198
	;; [unrolled: 1-line block ×4, first 2 shown]
	v_fmamk_f32 v100, v212, 0x3f5db3d7, v78
	v_fmac_f32_e32 v78, 0xbf5db3d7, v212
	v_fmamk_f32 v101, v216, 0xbf5db3d7, v79
	v_fmac_f32_e32 v79, 0x3f5db3d7, v216
	v_fmamk_f32 v102, v219, 0x3f5db3d7, v94
	v_fmac_f32_e32 v94, 0xbf5db3d7, v219
	v_fmamk_f32 v103, v221, 0xbf5db3d7, v95
	v_fmac_f32_e32 v95, 0x3f5db3d7, v221
	ds_write2_b64 v180, v[64:65], v[68:69] offset1:66
	ds_write2_b64 v56, v[70:71], v[74:75] offset0:140 offset1:206
	ds_write2_b64 v180, v[84:85], v[92:93] offset0:132 offset1:198
	;; [unrolled: 1-line block ×6, first 2 shown]
	ds_write_b64 v193, v[78:79] offset:8448
	ds_write2_b64 v121, v[80:81], v[102:103] offset0:24 offset1:156
	ds_write_b64 v192, v[94:95] offset:8448
	v_add_co_u32 v64, s0, 0x800, v107
	v_add_co_ci_u32_e64 v65, s0, 0, v115, s0
	v_add_co_u32 v66, s0, 0x800, v116
	v_add_co_ci_u32_e64 v67, s0, 0, v117, s0
	s_waitcnt lgkmcnt(0)
	s_barrier
	buffer_gl0_inv
	s_clause 0x3
	global_load_dwordx4 v[84:87], v[109:110], off offset:1072
	global_load_dwordx4 v[80:83], v[111:112], off offset:1072
	;; [unrolled: 1-line block ×4, first 2 shown]
	v_add_co_u32 v64, s0, 0x800, v118
	v_add_co_ci_u32_e64 v65, s0, 0, v119, s0
	s_clause 0x1
	global_load_dwordx4 v[68:71], v[66:67], off offset:1072
	global_load_dwordx4 v[64:67], v[64:65], off offset:1072
	v_lshl_add_u32 v195, v89, 3, v88
	v_add_co_u32 v88, s0, s12, v91
	ds_read2_b64 v[91:94], v56 offset0:140 offset1:206
	ds_read2_b64 v[95:98], v57 offset0:24 offset1:90
	;; [unrolled: 1-line block ×4, first 2 shown]
	ds_read2_b64 v[113:116], v180 offset1:66
	ds_read2_b64 v[117:120], v108 offset0:148 offset1:214
	ds_read2_b64 v[196:199], v180 offset0:132 offset1:198
	;; [unrolled: 1-line block ×4, first 2 shown]
	v_add_co_ci_u32_e64 v89, null, s13, 0, s0
	v_add_co_u32 v121, s0, 0x2520, v88
	v_add_nc_u32_e32 v103, 0x1000, v195
	v_add_co_ci_u32_e64 v122, s0, 0, v89, s0
	v_add_co_u32 v208, s0, 0x2000, v88
	v_add_co_ci_u32_e64 v209, s0, 0, v89, s0
	v_add_co_u32 v210, s0, 0x3000, v88
	;; [unrolled: 2-line block ×3, first 2 shown]
	v_add_co_ci_u32_e64 v213, s0, 0, v89, s0
	v_add_nc_u32_e32 v107, 0x1800, v195
	v_add_nc_u32_e32 v123, 0x2000, v195
	s_waitcnt vmcnt(5) lgkmcnt(8)
	v_mul_f32_e32 v194, v92, v85
	v_mul_f32_e32 v214, v91, v85
	s_waitcnt lgkmcnt(7)
	v_mul_f32_e32 v215, v96, v87
	v_mul_f32_e32 v216, v95, v87
	s_waitcnt vmcnt(4)
	v_mul_f32_e32 v217, v94, v81
	v_mul_f32_e32 v218, v93, v81
	v_mul_f32_e32 v219, v98, v83
	v_mul_f32_e32 v220, v97, v83
	s_waitcnt vmcnt(3) lgkmcnt(6)
	v_mul_f32_e32 v221, v100, v77
	v_mul_f32_e32 v222, v99, v77
	s_waitcnt lgkmcnt(5)
	v_mul_f32_e32 v223, v110, v79
	v_mul_f32_e32 v224, v109, v79
	s_waitcnt vmcnt(2)
	v_mul_f32_e32 v225, v102, v73
	v_mul_f32_e32 v226, v101, v73
	v_mul_f32_e32 v227, v112, v75
	v_mul_f32_e32 v228, v111, v75
	;; [unrolled: 11-line block ×3, first 2 shown]
	v_fma_f32 v91, v91, v84, -v194
	v_fmac_f32_e32 v214, v92, v84
	v_fma_f32 v92, v95, v86, -v215
	v_fmac_f32_e32 v216, v96, v86
	;; [unrolled: 2-line block ×12, first 2 shown]
	v_add_f32_e32 v102, v91, v92
	v_add_f32_e32 v111, v214, v216
	;; [unrolled: 1-line block ×5, first 2 shown]
	v_sub_f32_e32 v118, v214, v216
	v_add_f32_e32 v110, v114, v214
	v_sub_f32_e32 v119, v91, v92
	v_add_f32_e32 v112, v115, v93
	;; [unrolled: 2-line block ×4, first 2 shown]
	v_add_f32_e32 v214, v94, v97
	v_sub_f32_e32 v215, v222, v224
	v_add_f32_e32 v217, v197, v222
	v_add_f32_e32 v218, v222, v224
	v_sub_f32_e32 v219, v94, v97
	v_add_f32_e32 v222, v96, v101
	v_sub_f32_e32 v223, v226, v228
	v_add_f32_e32 v225, v199, v226
	v_add_f32_e32 v226, v226, v228
	;; [unrolled: 1-line block ×3, first 2 shown]
	v_sub_f32_e32 v233, v230, v232
	s_waitcnt lgkmcnt(0)
	v_add_f32_e32 v235, v205, v230
	v_add_f32_e32 v230, v230, v232
	;; [unrolled: 1-line block ×4, first 2 shown]
	v_sub_f32_e32 v240, v234, v236
	v_add_f32_e32 v241, v207, v234
	v_add_f32_e32 v234, v234, v236
	v_fma_f32 v93, -0.5, v102, v113
	v_fma_f32 v94, -0.5, v111, v114
	;; [unrolled: 1-line block ×3, first 2 shown]
	v_fmac_f32_e32 v116, -0.5, v201
	v_add_f32_e32 v221, v198, v96
	v_sub_f32_e32 v227, v96, v101
	v_add_f32_e32 v229, v204, v98
	v_sub_f32_e32 v237, v98, v109
	v_sub_f32_e32 v242, v99, v117
	v_add_f32_e32 v91, v100, v92
	v_add_f32_e32 v95, v112, v95
	v_fma_f32 v99, -0.5, v214, v196
	v_fma_f32 v100, -0.5, v218, v197
	;; [unrolled: 1-line block ×3, first 2 shown]
	v_fmac_f32_e32 v199, -0.5, v226
	v_fma_f32 v111, -0.5, v231, v204
	v_fma_f32 v112, -0.5, v230, v205
	v_add_f32_e32 v113, v238, v117
	v_fma_f32 v206, -0.5, v239, v206
	v_fmac_f32_e32 v207, -0.5, v234
	v_fmamk_f32 v117, v118, 0x3f5db3d7, v93
	v_fmac_f32_e32 v93, 0xbf5db3d7, v118
	v_fmamk_f32 v118, v119, 0xbf5db3d7, v94
	v_fmac_f32_e32 v94, 0x3f5db3d7, v119
	v_add_f32_e32 v92, v110, v216
	v_add_f32_e32 v96, v200, v220
	v_fmamk_f32 v119, v194, 0x3f5db3d7, v115
	v_fmamk_f32 v120, v202, 0xbf5db3d7, v116
	v_fmac_f32_e32 v115, 0xbf5db3d7, v194
	v_fmac_f32_e32 v116, 0x3f5db3d7, v202
	v_add_f32_e32 v97, v203, v97
	v_add_f32_e32 v98, v217, v224
	;; [unrolled: 1-line block ×7, first 2 shown]
	v_fmamk_f32 v196, v215, 0x3f5db3d7, v99
	v_fmac_f32_e32 v99, 0xbf5db3d7, v215
	v_fmamk_f32 v197, v219, 0xbf5db3d7, v100
	v_fmac_f32_e32 v100, 0x3f5db3d7, v219
	;; [unrolled: 2-line block ×8, first 2 shown]
	ds_write_b64 v180, v[117:118] offset:3168
	ds_write_b64 v180, v[93:94] offset:6336
	ds_write2_b64 v180, v[91:92], v[95:96] offset1:66
	ds_write_b64 v180, v[119:120] offset:3696
	ds_write_b64 v180, v[115:116] offset:6864
	ds_write2_b64 v180, v[97:98], v[101:102] offset0:132 offset1:198
	ds_write2_b64 v103, v[196:197], v[200:201] offset0:16 offset1:82
	;; [unrolled: 1-line block ×6, first 2 shown]
	v_add_co_u32 v91, s0, 0x4000, v88
	v_add_co_ci_u32_e64 v92, s0, 0, v89, s0
	v_add_co_u32 v93, s0, 0x2800, v88
	v_add_co_ci_u32_e64 v94, s0, 0, v89, s0
	s_waitcnt lgkmcnt(0)
	s_barrier
	buffer_gl0_inv
	s_clause 0x4
	global_load_dwordx2 v[208:209], v[208:209], off offset:1312
	global_load_dwordx2 v[214:215], v[121:122], off offset:1584
	;; [unrolled: 1-line block ×5, first 2 shown]
	v_add_co_u32 v88, s0, 0x4800, v88
	v_add_co_ci_u32_e64 v89, s0, 0, v89, s0
	s_clause 0xc
	global_load_dwordx2 v[222:223], v[91:92], off offset:1040
	global_load_dwordx2 v[224:225], v[121:122], off offset:528
	global_load_dwordx2 v[226:227], v[93:94], off offset:1376
	global_load_dwordx2 v[228:229], v[210:211], off offset:912
	global_load_dwordx2 v[230:231], v[212:213], off offset:448
	global_load_dwordx2 v[232:233], v[212:213], off offset:2032
	global_load_dwordx2 v[234:235], v[91:92], off offset:1568
	global_load_dwordx2 v[121:122], v[121:122], off offset:1056
	global_load_dwordx2 v[236:237], v[93:94], off offset:1904
	global_load_dwordx2 v[210:211], v[210:211], off offset:1440
	global_load_dwordx2 v[212:213], v[212:213], off offset:976
	global_load_dwordx2 v[238:239], v[91:92], off offset:512
	global_load_dwordx2 v[88:89], v[88:89], off offset:48
	ds_read2_b64 v[91:94], v180 offset1:66
	ds_read2_b64 v[95:98], v180 offset0:132 offset1:198
	ds_read2_b64 v[99:102], v56 offset0:140 offset1:206
	;; [unrolled: 1-line block ×8, first 2 shown]
	s_waitcnt vmcnt(12) lgkmcnt(3)
	v_mul_f32_e32 v243, v120, v223
	v_mul_f32_e32 v194, v98, v215
	;; [unrolled: 1-line block ×12, first 2 shown]
	s_waitcnt vmcnt(11)
	v_mul_f32_e32 v244, v94, v225
	v_mul_f32_e32 v223, v93, v225
	s_waitcnt vmcnt(10) lgkmcnt(2)
	v_mul_f32_e32 v245, v197, v227
	v_mul_f32_e32 v225, v196, v227
	s_waitcnt vmcnt(9)
	v_mul_f32_e32 v246, v102, v229
	v_mul_f32_e32 v227, v101, v229
	s_waitcnt vmcnt(7)
	;; [unrolled: 3-line block ×3, first 2 shown]
	v_mul_f32_e32 v250, v96, v122
	v_mul_f32_e32 v233, v95, v122
	s_waitcnt lgkmcnt(1)
	v_mul_f32_e32 v247, v201, v231
	v_mul_f32_e32 v103, v200, v231
	s_waitcnt lgkmcnt(0)
	v_mul_f32_e32 v249, v205, v235
	v_mul_f32_e32 v231, v204, v235
	s_waitcnt vmcnt(4)
	v_mul_f32_e32 v251, v199, v237
	v_mul_f32_e32 v235, v198, v237
	s_waitcnt vmcnt(3)
	;; [unrolled: 3-line block ×5, first 2 shown]
	v_mul_f32_e32 v255, v207, v89
	v_mul_f32_e32 v239, v206, v89
	v_fma_f32 v122, v91, v208, -v107
	v_fmac_f32_e32 v123, v92, v208
	v_fma_f32 v208, v97, v214, -v194
	v_fmac_f32_e32 v209, v98, v214
	;; [unrolled: 2-line block ×18, first 2 shown]
	ds_write2_b64 v180, v[122:123], v[222:223] offset1:66
	ds_write2_b64 v56, v[214:215], v[226:227] offset0:140 offset1:206
	ds_write2_b64 v57, v[218:219], v[228:229] offset0:24 offset1:90
	;; [unrolled: 1-line block ×8, first 2 shown]
	s_waitcnt lgkmcnt(0)
	s_barrier
	buffer_gl0_inv
	ds_read2_b64 v[93:96], v180 offset1:66
	ds_read2_b64 v[97:100], v56 offset0:140 offset1:206
	ds_read2_b64 v[109:112], v57 offset0:24 offset1:90
	ds_read2_b64 v[113:116], v180 offset0:132 offset1:198
	ds_read2_b64 v[117:120], v108 offset0:16 offset1:82
	ds_read2_b64 v[196:199], v57 offset0:156 offset1:222
	ds_read2_b64 v[200:203], v56 offset0:8 offset1:74
	ds_read2_b64 v[204:207], v108 offset0:148 offset1:214
	ds_read2_b64 v[88:91], v90 offset0:32 offset1:98
	v_add_nc_u32_e32 v123, 0x400, v180
	v_add_nc_u32_e32 v194, 0xc00, v180
	s_waitcnt lgkmcnt(0)
	s_barrier
	buffer_gl0_inv
	v_add_f32_e32 v103, v94, v98
	v_add_f32_e32 v101, v97, v109
	v_sub_f32_e32 v102, v98, v110
	v_add_f32_e32 v98, v98, v110
	v_add_f32_e32 v121, v119, v198
	v_sub_f32_e32 v122, v120, v199
	;; [unrolled: 3-line block ×3, first 2 shown]
	v_add_f32_e32 v216, v201, v205
	v_add_f32_e32 v205, v205, v89
	;; [unrolled: 1-line block ×3, first 2 shown]
	v_sub_f32_e32 v97, v97, v109
	v_add_f32_e32 v107, v115, v119
	v_sub_f32_e32 v119, v119, v198
	v_add_f32_e32 v210, v99, v111
	v_add_f32_e32 v212, v96, v100
	v_add_f32_e32 v214, v204, v88
	v_add_f32_e32 v217, v113, v117
	v_add_f32_e32 v218, v117, v196
	v_sub_f32_e32 v221, v117, v196
	v_add_f32_e32 v117, v202, v206
	v_sub_f32_e32 v223, v207, v91
	v_add_f32_e32 v224, v203, v207
	v_add_f32_e32 v207, v207, v91
	v_fma_f32 v93, -0.5, v101, v93
	v_add_f32_e32 v101, v103, v110
	v_fma_f32 v98, -0.5, v98, v94
	v_fma_f32 v103, -0.5, v121, v115
	;; [unrolled: 1-line block ×3, first 2 shown]
	v_add_f32_e32 v220, v114, v118
	v_sub_f32_e32 v211, v100, v112
	v_add_f32_e32 v100, v100, v112
	v_add_f32_e32 v213, v200, v204
	v_sub_f32_e32 v204, v204, v88
	v_fma_f32 v116, -0.5, v205, v201
	v_add_f32_e32 v209, v95, v99
	v_add_f32_e32 v222, v206, v90
	v_sub_f32_e32 v206, v206, v90
	v_add_f32_e32 v92, v92, v109
	v_add_f32_e32 v94, v107, v198
	;; [unrolled: 1-line block ×3, first 2 shown]
	v_fma_f32 v208, -0.5, v210, v95
	v_add_f32_e32 v95, v212, v112
	v_fma_f32 v112, -0.5, v214, v200
	v_add_f32_e32 v89, v216, v89
	v_add_f32_e32 v121, v217, v196
	;; [unrolled: 1-line block ×3, first 2 shown]
	v_fmac_f32_e32 v203, -0.5, v207
	v_fmamk_f32 v200, v102, 0xbf5db3d7, v93
	v_fmac_f32_e32 v93, 0x3f5db3d7, v102
	v_fmamk_f32 v102, v97, 0x3f5db3d7, v98
	v_fmac_f32_e32 v98, 0xbf5db3d7, v97
	;; [unrolled: 2-line block ×3, first 2 shown]
	v_fmamk_f32 v122, v119, 0x3f5db3d7, v115
	v_sub_f32_e32 v219, v118, v197
	v_add_f32_e32 v118, v118, v197
	v_add_f32_e32 v196, v220, v197
	;; [unrolled: 1-line block ×3, first 2 shown]
	v_fmac_f32_e32 v115, 0xbf5db3d7, v119
	v_sub_f32_e32 v99, v99, v111
	v_fmac_f32_e32 v96, -0.5, v100
	v_fmamk_f32 v201, v204, 0x3f5db3d7, v116
	v_fmac_f32_e32 v116, 0xbf5db3d7, v204
	v_add_f32_e32 v111, v209, v111
	v_add_f32_e32 v88, v213, v88
	v_fma_f32 v197, -0.5, v222, v202
	v_add_f32_e32 v109, v92, v94
	v_sub_f32_e32 v117, v92, v94
	v_add_f32_e32 v120, v95, v89
	v_sub_f32_e32 v199, v95, v89
	v_fmamk_f32 v89, v206, 0x3f5db3d7, v203
	v_fmac_f32_e32 v203, 0xbf5db3d7, v206
	v_add_f32_e32 v100, v121, v90
	v_sub_f32_e32 v94, v121, v90
	v_mul_f32_e32 v90, 0xbf5db3d7, v122
	v_mul_f32_e32 v121, 0.5, v122
	v_fmac_f32_e32 v114, -0.5, v118
	v_add_f32_e32 v110, v101, v107
	v_sub_f32_e32 v118, v101, v107
	v_add_f32_e32 v101, v196, v91
	v_sub_f32_e32 v95, v196, v91
	v_mul_f32_e32 v91, 0xbf5db3d7, v115
	v_mul_f32_e32 v122, -0.5, v115
	v_fmamk_f32 v107, v99, 0x3f5db3d7, v96
	v_fmac_f32_e32 v96, 0xbf5db3d7, v99
	v_fmamk_f32 v99, v215, 0xbf5db3d7, v112
	v_mul_f32_e32 v206, 0xbf5db3d7, v201
	v_mul_f32_e32 v209, 0.5, v201
	v_fmac_f32_e32 v112, 0x3f5db3d7, v215
	v_mul_f32_e32 v207, 0xbf5db3d7, v116
	v_mul_f32_e32 v210, -0.5, v116
	v_fma_f32 v113, -0.5, v218, v113
	v_fmamk_f32 v92, v211, 0xbf5db3d7, v208
	v_fmac_f32_e32 v208, 0x3f5db3d7, v211
	v_add_f32_e32 v119, v111, v88
	v_sub_f32_e32 v198, v111, v88
	v_fmamk_f32 v88, v223, 0xbf5db3d7, v197
	v_fmac_f32_e32 v197, 0x3f5db3d7, v223
	v_mul_f32_e32 v211, 0xbf5db3d7, v89
	v_mul_f32_e32 v212, 0xbf5db3d7, v203
	v_mul_f32_e32 v213, 0.5, v89
	v_mul_f32_e32 v214, -0.5, v203
	v_fmac_f32_e32 v90, 0.5, v97
	v_fmac_f32_e32 v121, 0x3f5db3d7, v97
	v_fmac_f32_e32 v91, -0.5, v103
	v_fmac_f32_e32 v122, 0x3f5db3d7, v103
	v_fmac_f32_e32 v206, 0.5, v99
	v_fmac_f32_e32 v209, 0x3f5db3d7, v99
	v_fmac_f32_e32 v207, -0.5, v112
	v_fmac_f32_e32 v210, 0x3f5db3d7, v112
	v_fmamk_f32 v204, v219, 0xbf5db3d7, v113
	v_fmac_f32_e32 v113, 0x3f5db3d7, v219
	v_fmamk_f32 v205, v221, 0x3f5db3d7, v114
	v_fmac_f32_e32 v114, 0xbf5db3d7, v221
	v_fmac_f32_e32 v211, 0.5, v88
	v_fmac_f32_e32 v212, -0.5, v197
	v_fmac_f32_e32 v213, 0x3f5db3d7, v88
	v_fmac_f32_e32 v214, 0x3f5db3d7, v197
	v_add_f32_e32 v111, v200, v90
	v_add_f32_e32 v112, v102, v121
	v_add_f32_e32 v115, v93, v91
	v_add_f32_e32 v116, v98, v122
	v_sub_f32_e32 v200, v200, v90
	v_sub_f32_e32 v202, v93, v91
	v_sub_f32_e32 v201, v102, v121
	v_sub_f32_e32 v203, v98, v122
	v_add_f32_e32 v121, v92, v206
	v_add_f32_e32 v122, v107, v209
	v_add_f32_e32 v196, v208, v207
	v_add_f32_e32 v197, v96, v210
	v_sub_f32_e32 v88, v92, v206
	v_sub_f32_e32 v89, v107, v209
	v_sub_f32_e32 v90, v208, v207
	v_sub_f32_e32 v91, v96, v210
	;; [unrolled: 8-line block ×3, first 2 shown]
	ds_write_b128 v106, v[109:112]
	ds_write_b128 v106, v[115:118] offset:16
	ds_write_b128 v106, v[200:203] offset:32
	ds_write_b128 v105, v[119:122]
	ds_write_b128 v105, v[196:199] offset:16
	ds_write_b128 v105, v[88:91] offset:32
	ds_write_b128 v104, v[100:103]
	ds_write_b128 v104, v[92:95] offset:16
	ds_write_b128 v104, v[96:99] offset:32
	s_waitcnt lgkmcnt(0)
	s_barrier
	buffer_gl0_inv
	ds_read2_b64 v[104:107], v180 offset1:108
	ds_read2_b64 v[120:123], v123 offset0:88 offset1:196
	ds_read2_b64 v[116:119], v194 offset0:48 offset1:156
	;; [unrolled: 1-line block ×4, first 2 shown]
	ds_read_b64 v[88:89], v180 offset:8640
	s_and_saveexec_b32 s0, vcc_lo
	s_cbranch_execz .LBB0_7
; %bb.6:
	ds_read2_b64 v[90:93], v194 offset0:114 offset1:222
	ds_read2_b64 v[98:101], v56 offset0:26 offset1:134
	v_add_nc_u32_e32 v56, 0x1400, v180
	v_add_nc_u32_e32 v60, 0x1c00, v180
	ds_read2_b64 v[196:199], v180 offset0:66 offset1:174
	ds_read2_b64 v[56:59], v56 offset0:74 offset1:182
	ds_read_b64 v[177:178], v180 offset:9168
	ds_read2_b64 v[60:63], v60 offset0:34 offset1:142
	s_waitcnt lgkmcnt(5)
	v_mov_b32_e32 v96, v92
	v_mov_b32_e32 v97, v93
	;; [unrolled: 1-line block ×4, first 2 shown]
	s_waitcnt lgkmcnt(4)
	v_mov_b32_e32 v92, v100
	v_mov_b32_e32 v93, v101
	;; [unrolled: 1-line block ×4, first 2 shown]
	s_waitcnt lgkmcnt(3)
	v_mov_b32_e32 v100, v198
	v_mov_b32_e32 v101, v199
	v_mov_b32_e32 v90, v196
	s_waitcnt lgkmcnt(2)
	v_mov_b32_e32 v98, v56
	v_mov_b32_e32 v99, v57
	;; [unrolled: 1-line block ×3, first 2 shown]
.LBB0_7:
	s_or_b32 exec_lo, exec_lo, s0
	s_waitcnt lgkmcnt(5)
	v_mul_f32_e32 v196, v37, v107
	v_mul_f32_e32 v197, v37, v106
	s_waitcnt lgkmcnt(4)
	v_mul_f32_e32 v198, v39, v121
	v_mul_f32_e32 v39, v39, v120
	v_add_nc_u32_e32 v194, 0x420, v195
	v_fmac_f32_e32 v196, v36, v106
	v_mul_f32_e32 v106, v33, v123
	v_mul_f32_e32 v33, v33, v122
	v_fma_f32 v36, v36, v107, -v197
	v_fmac_f32_e32 v198, v38, v120
	v_fma_f32 v38, v38, v121, -v39
	s_waitcnt lgkmcnt(3)
	v_mul_f32_e32 v39, v35, v117
	v_mul_f32_e32 v35, v35, v116
	v_fmac_f32_e32 v106, v32, v122
	v_fma_f32 v32, v32, v123, -v33
	v_mul_f32_e32 v33, v29, v119
	v_mul_f32_e32 v29, v29, v118
	v_add_f32_e32 v107, v104, v196
	v_fmac_f32_e32 v39, v34, v116
	v_fma_f32 v34, v34, v117, -v35
	s_waitcnt lgkmcnt(2)
	v_mul_f32_e32 v35, v31, v113
	v_fmac_f32_e32 v33, v28, v118
	v_fma_f32 v28, v28, v119, -v29
	v_mul_f32_e32 v29, v31, v112
	v_add_f32_e32 v31, v107, v198
	v_add_f32_e32 v116, v105, v36
	v_fmac_f32_e32 v35, v30, v112
	v_mul_f32_e32 v112, v25, v115
	v_fma_f32 v29, v30, v113, -v29
	v_add_f32_e32 v30, v31, v106
	v_add_f32_e32 v107, v116, v38
	v_mul_f32_e32 v25, v25, v114
	v_fmac_f32_e32 v112, v24, v114
	v_add_nc_u32_e32 v57, 0x630, v195
	v_add_f32_e32 v30, v30, v39
	v_add_f32_e32 v31, v107, v32
	v_fma_f32 v24, v24, v115, -v25
	s_waitcnt lgkmcnt(1)
	v_mul_f32_e32 v25, v27, v109
	v_mul_f32_e32 v27, v27, v108
	v_add_f32_e32 v30, v30, v33
	v_add_f32_e32 v31, v31, v34
	v_mul_f32_e32 v107, v21, v111
	v_fmac_f32_e32 v25, v26, v108
	v_fma_f32 v26, v26, v109, -v27
	v_add_f32_e32 v30, v30, v35
	v_add_f32_e32 v31, v31, v28
	s_waitcnt lgkmcnt(0)
	v_mul_f32_e32 v27, v23, v88
	v_mul_f32_e32 v23, v23, v89
	;; [unrolled: 1-line block ×3, first 2 shown]
	v_add_f32_e32 v30, v30, v112
	v_fmac_f32_e32 v107, v20, v110
	v_add_f32_e32 v31, v31, v29
	v_fma_f32 v27, v22, v89, -v27
	v_fmac_f32_e32 v23, v22, v88
	v_fma_f32 v22, v20, v111, -v21
	v_add_f32_e32 v20, v30, v25
	v_add_f32_e32 v31, v31, v24
	v_sub_f32_e32 v88, v36, v27
	v_add_f32_e32 v30, v196, v23
	v_sub_f32_e32 v89, v196, v23
	v_add_f32_e32 v20, v20, v107
	v_add_f32_e32 v21, v31, v26
	;; [unrolled: 1-line block ×3, first 2 shown]
	v_mul_f32_e32 v36, 0xbf0a6770, v88
	v_mul_f32_e32 v113, 0xbf7d64f0, v88
	v_add_f32_e32 v20, v20, v23
	v_mul_f32_e32 v23, 0xbf68dda4, v88
	v_mul_f32_e32 v118, 0xbf4178ce, v88
	;; [unrolled: 1-line block ×3, first 2 shown]
	v_sub_f32_e32 v123, v38, v22
	v_add_f32_e32 v21, v21, v22
	v_mul_f32_e32 v108, 0x3f575c64, v31
	v_fmamk_f32 v109, v30, 0x3f575c64, v36
	v_fma_f32 v36, 0x3f575c64, v30, -v36
	v_fmamk_f32 v110, v30, 0x3ed4b147, v23
	v_mul_f32_e32 v111, 0x3ed4b147, v31
	v_fma_f32 v23, 0x3ed4b147, v30, -v23
	v_mul_f32_e32 v115, 0xbe11bafb, v31
	v_fmamk_f32 v116, v30, 0xbe11bafb, v113
	v_fma_f32 v113, 0xbe11bafb, v30, -v113
	v_mul_f32_e32 v119, 0xbf27a4f4, v31
	v_fmamk_f32 v120, v30, 0xbf27a4f4, v118
	v_fma_f32 v118, 0xbf27a4f4, v30, -v118
	v_fmamk_f32 v122, v30, 0xbf75a155, v88
	v_mul_f32_e32 v31, 0xbf75a155, v31
	v_fma_f32 v30, 0xbf75a155, v30, -v88
	v_add_f32_e32 v22, v38, v22
	v_add_f32_e32 v38, v198, v107
	v_mul_f32_e32 v88, 0xbf68dda4, v123
	v_add_nc_u32_e32 v56, 0x840, v195
	v_add_nc_u32_e32 v37, 0xa50, v195
	v_add_f32_e32 v21, v21, v27
	v_fmamk_f32 v27, v89, 0x3f0a6770, v108
	v_add_f32_e32 v109, v104, v109
	v_fmac_f32_e32 v108, 0xbf0a6770, v89
	v_fmamk_f32 v114, v89, 0x3f68dda4, v111
	v_fmac_f32_e32 v111, 0xbf68dda4, v89
	v_fmamk_f32 v117, v89, 0x3f7d64f0, v115
	;; [unrolled: 2-line block ×4, first 2 shown]
	v_fmac_f32_e32 v31, 0xbe903f40, v89
	v_sub_f32_e32 v89, v198, v107
	v_mul_f32_e32 v107, 0x3ed4b147, v22
	v_fmamk_f32 v196, v38, 0x3ed4b147, v88
	v_add_f32_e32 v27, v105, v27
	v_add_f32_e32 v36, v104, v36
	;; [unrolled: 1-line block ×19, first 2 shown]
	v_fmamk_f32 v104, v89, 0x3f68dda4, v107
	v_mul_f32_e32 v105, 0xbf4178ce, v123
	v_add_f32_e32 v109, v196, v109
	v_fma_f32 v88, 0x3ed4b147, v38, -v88
	v_fmac_f32_e32 v107, 0xbf68dda4, v89
	v_mul_f32_e32 v196, 0xbf27a4f4, v22
	v_add_f32_e32 v27, v104, v27
	v_fmamk_f32 v104, v38, 0xbf27a4f4, v105
	v_add_f32_e32 v36, v88, v36
	v_add_f32_e32 v88, v107, v108
	v_mul_f32_e32 v107, 0x3e903f40, v123
	v_fmamk_f32 v108, v89, 0x3f4178ce, v196
	v_fma_f32 v105, 0xbf27a4f4, v38, -v105
	v_fmac_f32_e32 v196, 0xbf4178ce, v89
	v_mul_f32_e32 v197, 0xbf75a155, v22
	v_add_f32_e32 v104, v104, v110
	v_fmamk_f32 v110, v38, 0xbf75a155, v107
	v_add_f32_e32 v108, v108, v114
	v_add_f32_e32 v23, v105, v23
	;; [unrolled: 1-line block ×3, first 2 shown]
	v_fmamk_f32 v111, v89, 0xbe903f40, v197
	v_mul_f32_e32 v114, 0x3f7d64f0, v123
	v_add_f32_e32 v110, v110, v116
	v_fma_f32 v107, 0xbf75a155, v38, -v107
	v_mul_f32_e32 v116, 0xbe11bafb, v22
	v_add_f32_e32 v111, v111, v117
	v_fmamk_f32 v117, v38, 0xbe11bafb, v114
	v_mul_f32_e32 v123, 0x3f0a6770, v123
	v_fma_f32 v114, 0xbe11bafb, v38, -v114
	v_add_f32_e32 v107, v107, v113
	v_fmamk_f32 v113, v89, 0xbf7d64f0, v116
	v_add_f32_e32 v117, v117, v120
	v_fmac_f32_e32 v116, 0x3f7d64f0, v89
	v_fmamk_f32 v120, v38, 0x3f575c64, v123
	v_add_f32_e32 v114, v114, v118
	v_sub_f32_e32 v118, v32, v26
	v_add_f32_e32 v113, v113, v121
	v_mul_f32_e32 v22, 0x3f575c64, v22
	v_add_f32_e32 v116, v116, v119
	v_add_f32_e32 v119, v120, v122
	;; [unrolled: 1-line block ×3, first 2 shown]
	v_mul_f32_e32 v122, 0xbf7d64f0, v118
	v_add_f32_e32 v26, v32, v26
	v_fmac_f32_e32 v197, 0x3e903f40, v89
	v_fmamk_f32 v120, v89, 0xbf0a6770, v22
	v_fma_f32 v32, 0x3f575c64, v38, -v123
	v_fmac_f32_e32 v22, 0x3f0a6770, v89
	v_sub_f32_e32 v25, v106, v25
	v_fmamk_f32 v38, v121, 0xbe11bafb, v122
	v_mul_f32_e32 v89, 0xbe11bafb, v26
	v_add_f32_e32 v106, v120, v195
	v_add_f32_e32 v30, v32, v30
	;; [unrolled: 1-line block ×4, first 2 shown]
	v_fmamk_f32 v32, v25, 0x3f7d64f0, v89
	v_mul_f32_e32 v38, 0x3e903f40, v118
	v_fma_f32 v109, 0xbe11bafb, v121, -v122
	v_fmac_f32_e32 v89, 0xbf7d64f0, v25
	v_mul_f32_e32 v120, 0xbf75a155, v26
	v_add_f32_e32 v27, v32, v27
	v_fmamk_f32 v32, v121, 0xbf75a155, v38
	v_add_f32_e32 v36, v109, v36
	v_add_f32_e32 v88, v89, v88
	v_fmamk_f32 v89, v25, 0xbe903f40, v120
	v_mul_f32_e32 v109, 0x3f68dda4, v118
	v_add_f32_e32 v32, v32, v104
	v_fma_f32 v38, 0xbf75a155, v121, -v38
	v_fmac_f32_e32 v120, 0x3e903f40, v25
	v_add_f32_e32 v89, v89, v108
	v_fmamk_f32 v104, v121, 0x3ed4b147, v109
	v_mul_f32_e32 v108, 0x3ed4b147, v26
	v_add_f32_e32 v23, v38, v23
	v_add_f32_e32 v38, v120, v105
	v_mul_f32_e32 v105, 0xbf0a6770, v118
	v_add_f32_e32 v104, v104, v110
	v_fmamk_f32 v110, v25, 0xbf68dda4, v108
	v_mul_f32_e32 v122, 0x3f575c64, v26
	v_add_f32_e32 v115, v197, v115
	v_fma_f32 v109, 0x3ed4b147, v121, -v109
	v_fmac_f32_e32 v108, 0x3f68dda4, v25
	v_fmamk_f32 v120, v121, 0x3f575c64, v105
	v_add_f32_e32 v110, v110, v111
	v_fmamk_f32 v111, v25, 0x3f0a6770, v122
	v_mul_f32_e32 v26, 0xbf27a4f4, v26
	v_fma_f32 v105, 0x3f575c64, v121, -v105
	v_fmac_f32_e32 v122, 0xbf0a6770, v25
	v_add_f32_e32 v107, v109, v107
	v_add_f32_e32 v108, v108, v115
	v_add_f32_e32 v109, v120, v117
	v_mul_f32_e32 v115, 0xbf4178ce, v118
	v_fmamk_f32 v117, v25, 0x3f4178ce, v26
	v_add_f32_e32 v105, v105, v114
	v_add_f32_e32 v114, v122, v116
	v_sub_f32_e32 v116, v34, v24
	v_add_f32_e32 v24, v34, v24
	v_add_f32_e32 v111, v111, v113
	v_fmamk_f32 v113, v121, 0xbf27a4f4, v115
	v_add_f32_e32 v106, v117, v106
	v_add_f32_e32 v117, v39, v112
	v_mul_f32_e32 v34, 0xbf4178ce, v116
	v_fma_f32 v115, 0xbf27a4f4, v121, -v115
	v_fmac_f32_e32 v26, 0xbf4178ce, v25
	v_sub_f32_e32 v25, v39, v112
	v_mul_f32_e32 v39, 0xbf27a4f4, v24
	v_fmamk_f32 v112, v117, 0xbf27a4f4, v34
	v_add_f32_e32 v30, v115, v30
	v_add_f32_e32 v22, v26, v22
	v_mul_f32_e32 v26, 0x3f7d64f0, v116
	v_fmamk_f32 v115, v25, 0x3f4178ce, v39
	v_add_f32_e32 v31, v112, v31
	v_fma_f32 v34, 0xbf27a4f4, v117, -v34
	v_fmac_f32_e32 v39, 0xbf4178ce, v25
	v_fmamk_f32 v112, v117, 0xbe11bafb, v26
	v_add_f32_e32 v27, v115, v27
	v_mul_f32_e32 v115, 0xbe11bafb, v24
	v_add_f32_e32 v34, v34, v36
	v_add_f32_e32 v36, v39, v88
	;; [unrolled: 1-line block ×3, first 2 shown]
	v_fma_f32 v26, 0xbe11bafb, v117, -v26
	v_fmamk_f32 v88, v25, 0xbf7d64f0, v115
	v_mul_f32_e32 v112, 0x3f575c64, v24
	v_mul_f32_e32 v39, 0xbf0a6770, v116
	v_fmac_f32_e32 v115, 0x3f7d64f0, v25
	v_add_f32_e32 v113, v113, v119
	v_add_f32_e32 v88, v88, v89
	;; [unrolled: 1-line block ×3, first 2 shown]
	v_fmamk_f32 v23, v25, 0x3f0a6770, v112
	v_fmamk_f32 v118, v117, 0x3f575c64, v39
	v_mul_f32_e32 v26, 0xbe903f40, v116
	v_fma_f32 v39, 0x3f575c64, v117, -v39
	v_fmac_f32_e32 v112, 0xbf0a6770, v25
	v_add_f32_e32 v110, v23, v110
	v_mul_f32_e32 v23, 0xbf75a155, v24
	v_add_f32_e32 v38, v115, v38
	v_fmamk_f32 v115, v117, 0xbf75a155, v26
	v_add_f32_e32 v39, v39, v107
	v_add_f32_e32 v107, v112, v108
	v_mul_f32_e32 v108, 0x3f68dda4, v116
	v_fmamk_f32 v112, v25, 0x3e903f40, v23
	v_fma_f32 v26, 0xbf75a155, v117, -v26
	v_fmac_f32_e32 v23, 0xbe903f40, v25
	v_add_f32_e32 v109, v115, v109
	v_fmamk_f32 v115, v117, 0x3ed4b147, v108
	v_add_f32_e32 v111, v112, v111
	v_mul_f32_e32 v24, 0x3ed4b147, v24
	v_add_f32_e32 v105, v26, v105
	v_add_f32_e32 v112, v23, v114
	v_sub_f32_e32 v114, v28, v29
	v_fma_f32 v26, 0x3ed4b147, v117, -v108
	v_add_f32_e32 v108, v28, v29
	v_add_f32_e32 v113, v115, v113
	v_fmamk_f32 v23, v25, 0xbf68dda4, v24
	v_add_f32_e32 v115, v33, v35
	v_mul_f32_e32 v28, 0xbe903f40, v114
	v_fmac_f32_e32 v24, 0x3f68dda4, v25
	v_sub_f32_e32 v116, v33, v35
	v_mul_f32_e32 v25, 0xbf75a155, v108
	v_add_f32_e32 v104, v118, v104
	v_add_f32_e32 v106, v23, v106
	v_fmamk_f32 v23, v115, 0xbf75a155, v28
	v_add_f32_e32 v118, v24, v22
	v_fmamk_f32 v24, v116, 0x3e903f40, v25
	v_mul_f32_e32 v29, 0x3f0a6770, v114
	v_add_f32_e32 v117, v26, v30
	v_add_f32_e32 v22, v23, v31
	v_fma_f32 v26, 0xbf75a155, v115, -v28
	v_add_f32_e32 v23, v24, v27
	v_fmamk_f32 v27, v115, 0x3f575c64, v29
	v_mul_f32_e32 v30, 0x3f575c64, v108
	v_mul_f32_e32 v31, 0xbf4178ce, v114
	v_add_f32_e32 v24, v26, v34
	v_mul_f32_e32 v33, 0xbf27a4f4, v108
	v_add_f32_e32 v26, v27, v32
	v_fmamk_f32 v27, v116, 0xbf0a6770, v30
	v_fmac_f32_e32 v30, 0x3f0a6770, v116
	v_fmamk_f32 v32, v115, 0xbf27a4f4, v31
	v_fmac_f32_e32 v25, 0xbe903f40, v116
	v_fma_f32 v28, 0x3f575c64, v115, -v29
	v_mul_f32_e32 v34, 0x3f68dda4, v114
	v_add_f32_e32 v29, v30, v38
	v_add_f32_e32 v30, v32, v104
	v_fmamk_f32 v32, v116, 0x3f4178ce, v33
	v_fmac_f32_e32 v33, 0xbf4178ce, v116
	v_fma_f32 v35, 0xbf27a4f4, v115, -v31
	v_add_f32_e32 v25, v25, v36
	v_add_f32_e32 v27, v27, v88
	v_mul_f32_e32 v36, 0x3ed4b147, v108
	v_add_f32_e32 v33, v33, v107
	v_mul_f32_e32 v88, 0xbf7d64f0, v114
	v_mul_f32_e32 v107, 0xbe11bafb, v108
	v_add_f32_e32 v31, v32, v110
	v_fmamk_f32 v38, v115, 0x3ed4b147, v34
	v_add_f32_e32 v32, v35, v39
	v_fma_f32 v39, 0x3ed4b147, v115, -v34
	v_add_f32_e32 v28, v28, v89
	v_fmamk_f32 v35, v116, 0xbf68dda4, v36
	v_fmamk_f32 v89, v115, 0xbe11bafb, v88
	;; [unrolled: 1-line block ×3, first 2 shown]
	v_add_f32_e32 v34, v38, v109
	v_add_f32_e32 v38, v39, v105
	v_fmac_f32_e32 v36, 0x3f68dda4, v116
	v_fma_f32 v105, 0xbe11bafb, v115, -v88
	v_fmac_f32_e32 v107, 0xbf7d64f0, v116
	v_add_f32_e32 v35, v35, v111
	v_add_f32_e32 v88, v89, v113
	;; [unrolled: 1-line block ×6, first 2 shown]
	s_barrier
	buffer_gl0_inv
	ds_write2_b64 v184, v[20:21], v[22:23] offset1:6
	ds_write2_b64 v184, v[26:27], v[30:31] offset0:12 offset1:18
	ds_write2_b64 v184, v[34:35], v[88:89] offset0:24 offset1:30
	;; [unrolled: 1-line block ×4, first 2 shown]
	ds_write_b64 v184, v[24:25] offset:480
	s_and_saveexec_b32 s0, vcc_lo
	s_cbranch_execz .LBB0_9
; %bb.8:
	v_mul_f32_e32 v20, v19, v177
	v_mul_f32_e32 v21, v13, v100
	;; [unrolled: 1-line block ×5, first 2 shown]
	v_fma_f32 v20, v18, v178, -v20
	v_fma_f32 v21, v12, v101, -v21
	v_mul_f32_e32 v23, v15, v102
	v_fmac_f32_e32 v13, v12, v100
	v_fmac_f32_e32 v19, v18, v177
	v_mul_f32_e32 v15, v15, v103
	v_add_f32_e32 v12, v20, v21
	v_fma_f32 v18, v16, v63, -v22
	v_fma_f32 v22, v14, v103, -v23
	v_mul_f32_e32 v17, v17, v63
	v_mul_f32_e32 v25, v11, v60
	;; [unrolled: 1-line block ×3, first 2 shown]
	v_sub_f32_e32 v23, v13, v19
	v_mul_f32_e32 v24, 0xbf75a155, v12
	v_add_f32_e32 v27, v18, v22
	v_fmac_f32_e32 v15, v14, v102
	v_fmac_f32_e32 v17, v16, v62
	v_fma_f32 v14, v10, v61, -v25
	v_fma_f32 v16, v4, v93, -v26
	v_mul_f32_e32 v25, v5, v93
	v_mul_f32_e32 v11, v11, v61
	v_fmamk_f32 v28, v23, 0x3e903f40, v24
	v_mul_f32_e32 v26, 0x3f575c64, v27
	v_sub_f32_e32 v29, v15, v17
	v_add_f32_e32 v30, v14, v16
	v_fmac_f32_e32 v25, v4, v92
	v_fmac_f32_e32 v11, v10, v60
	v_add_f32_e32 v4, v91, v28
	v_fmamk_f32 v5, v29, 0xbf0a6770, v26
	v_mul_f32_e32 v10, 0xbf27a4f4, v30
	v_mul_f32_e32 v31, v7, v94
	v_sub_f32_e32 v28, v25, v11
	v_mul_f32_e32 v34, v9, v59
	v_add_f32_e32 v4, v5, v4
	v_mul_f32_e32 v5, v9, v58
	v_fma_f32 v31, v6, v95, -v31
	v_fmamk_f32 v32, v28, 0x3f4178ce, v10
	v_add_f32_e32 v38, v19, v13
	v_mul_f32_e32 v9, v1, v96
	v_fma_f32 v33, v8, v59, -v5
	v_sub_f32_e32 v59, v22, v18
	v_add_f32_e32 v4, v32, v4
	v_mul_f32_e32 v32, v7, v95
	v_mul_f32_e32 v60, v1, v97
	v_add_f32_e32 v62, v17, v15
	v_mul_f32_e32 v63, 0x3f0a6770, v59
	v_sub_f32_e32 v88, v16, v14
	v_fmac_f32_e32 v32, v6, v94
	v_sub_f32_e32 v6, v21, v20
	v_mul_f32_e32 v5, v3, v98
	v_add_f32_e32 v7, v33, v31
	v_fmac_f32_e32 v34, v8, v58
	v_fma_f32 v9, v0, v97, -v9
	v_mul_f32_e32 v39, 0xbe903f40, v6
	v_fmac_f32_e32 v60, v0, v96
	v_add_f32_e32 v89, v11, v25
	v_mul_f32_e32 v92, 0xbf4178ce, v88
	v_fma_f32 v8, v2, v99, -v5
	v_fmamk_f32 v1, v38, 0xbf75a155, v39
	v_mul_f32_e32 v35, 0x3ed4b147, v7
	v_sub_f32_e32 v36, v32, v34
	v_mul_f32_e32 v61, v3, v99
	v_mul_f32_e32 v95, 0xbf27a4f4, v12
	v_add_f32_e32 v0, v90, v1
	v_fmamk_f32 v1, v62, 0x3f575c64, v63
	v_add_f32_e32 v58, v8, v9
	v_fmac_f32_e32 v61, v2, v98
	v_fmamk_f32 v2, v36, 0xbf68dda4, v35
	v_mul_f32_e32 v97, 0xbe11bafb, v27
	v_add_f32_e32 v0, v1, v0
	v_fmamk_f32 v1, v89, 0xbf27a4f4, v92
	v_mul_f32_e32 v93, 0xbe11bafb, v58
	v_sub_f32_e32 v94, v60, v61
	v_add_f32_e32 v2, v2, v4
	v_fmamk_f32 v4, v29, 0xbf7d64f0, v97
	v_add_f32_e32 v0, v1, v0
	v_fmamk_f32 v1, v23, 0x3f4178ce, v95
	v_mul_f32_e32 v101, 0x3f575c64, v30
	v_fmamk_f32 v3, v94, 0x3f7d64f0, v93
	v_mul_f32_e32 v104, 0xbf75a155, v7
	v_mul_f32_e32 v105, 0xbf4178ce, v6
	v_add_f32_e32 v1, v91, v1
	v_mul_f32_e32 v107, 0x3f7d64f0, v59
	v_sub_f32_e32 v96, v31, v33
	v_fmamk_f32 v106, v36, 0x3e903f40, v104
	v_mul_f32_e32 v108, 0xbe11bafb, v12
	v_add_f32_e32 v1, v4, v1
	v_fmamk_f32 v4, v28, 0x3f0a6770, v101
	v_mul_f32_e32 v109, 0xbf0a6770, v88
	v_add_f32_e32 v98, v34, v32
	v_mul_f32_e32 v99, 0x3f68dda4, v96
	v_sub_f32_e32 v100, v9, v8
	v_add_f32_e32 v4, v4, v1
	v_add_f32_e32 v1, v3, v2
	v_fmamk_f32 v2, v38, 0xbf27a4f4, v105
	v_fmamk_f32 v110, v23, 0x3f7d64f0, v108
	v_mul_f32_e32 v111, 0xbf75a155, v27
	v_add_f32_e32 v3, v106, v4
	v_fmamk_f32 v4, v62, 0xbe11bafb, v107
	v_add_f32_e32 v2, v90, v2
	v_mul_f32_e32 v112, 0xbe903f40, v96
	v_fmamk_f32 v5, v98, 0x3ed4b147, v99
	v_add_f32_e32 v102, v61, v60
	v_mul_f32_e32 v103, 0xbf7d64f0, v100
	v_add_f32_e32 v2, v4, v2
	v_fmamk_f32 v4, v89, 0x3f575c64, v109
	v_add_f32_e32 v110, v91, v110
	v_fmamk_f32 v113, v29, 0xbe903f40, v111
	v_mul_f32_e32 v114, 0x3ed4b147, v30
	v_mul_f32_e32 v115, 0x3f68dda4, v100
	v_add_f32_e32 v2, v4, v2
	v_fmamk_f32 v4, v98, 0xbf75a155, v112
	v_add_f32_e32 v0, v5, v0
	v_fmamk_f32 v5, v102, 0xbe11bafb, v103
	v_mul_f32_e32 v106, 0x3ed4b147, v58
	v_add_f32_e32 v110, v113, v110
	v_fmamk_f32 v113, v28, 0xbf68dda4, v114
	v_mul_f32_e32 v116, 0x3f575c64, v7
	;; [unrolled: 3-line block ×3, first 2 shown]
	v_add_f32_e32 v0, v5, v0
	v_fmamk_f32 v5, v94, 0xbf68dda4, v106
	v_add_f32_e32 v110, v113, v110
	v_fmamk_f32 v113, v36, 0x3f0a6770, v116
	;; [unrolled: 2-line block ×3, first 2 shown]
	v_mul_f32_e32 v118, 0x3e903f40, v59
	v_add_f32_e32 v3, v5, v3
	v_add_f32_e32 v5, v113, v110
	v_mul_f32_e32 v113, 0x3ed4b147, v12
	v_add_f32_e32 v4, v90, v4
	v_fmamk_f32 v119, v62, 0xbf75a155, v118
	v_mul_f32_e32 v120, 0x3f68dda4, v88
	v_mul_f32_e32 v123, 0xbf27a4f4, v27
	v_fmamk_f32 v122, v23, 0x3f68dda4, v113
	v_mul_f32_e32 v177, 0xbf0a6770, v96
	v_add_f32_e32 v4, v119, v4
	v_fmamk_f32 v119, v89, 0x3ed4b147, v120
	v_mul_f32_e32 v110, 0xbf27a4f4, v58
	v_add_f32_e32 v122, v91, v122
	;; [unrolled: 3-line block ×3, first 2 shown]
	v_fmamk_f32 v119, v98, 0x3f575c64, v177
	v_mul_f32_e32 v195, 0xbf4178ce, v100
	v_fmamk_f32 v121, v94, 0x3f4178ce, v110
	v_add_f32_e32 v122, v178, v122
	v_fmamk_f32 v178, v28, 0xbe903f40, v184
	v_mul_f32_e32 v196, 0xbe11bafb, v7
	v_add_f32_e32 v4, v119, v4
	v_fmamk_f32 v119, v102, 0xbf27a4f4, v195
	v_mul_f32_e32 v197, 0xbf68dda4, v6
	v_mul_f32_e32 v198, 0x3f575c64, v12
	v_add_f32_e32 v122, v178, v122
	v_fmamk_f32 v178, v36, 0xbf7d64f0, v196
	v_add_f32_e32 v5, v121, v5
	v_add_f32_e32 v4, v119, v4
	v_fmamk_f32 v119, v38, 0x3ed4b147, v197
	v_mul_f32_e32 v121, 0xbf4178ce, v59
	v_fmamk_f32 v201, v23, 0x3f0a6770, v198
	v_mul_f32_e32 v27, 0x3ed4b147, v27
	v_add_f32_e32 v122, v178, v122
	v_mul_f32_e32 v178, 0x3f575c64, v58
	v_add_f32_e32 v12, v90, v119
	v_fmamk_f32 v119, v62, 0xbf27a4f4, v121
	v_mul_f32_e32 v199, 0x3e903f40, v88
	v_add_f32_e32 v201, v91, v201
	v_fmamk_f32 v203, v29, 0x3f68dda4, v27
	v_mul_f32_e32 v30, 0xbe11bafb, v30
	v_fmamk_f32 v200, v94, 0xbf0a6770, v178
	v_add_f32_e32 v12, v119, v12
	v_fmamk_f32 v119, v89, 0xbf75a155, v199
	v_mul_f32_e32 v202, 0x3f7d64f0, v96
	v_add_f32_e32 v201, v203, v201
	v_fmamk_f32 v203, v28, 0x3f7d64f0, v30
	v_add_f32_e32 v21, v21, v91
	v_add_f32_e32 v13, v90, v13
	;; [unrolled: 1-line block ×3, first 2 shown]
	v_fmamk_f32 v119, v98, 0xbe11bafb, v202
	v_mul_f32_e32 v204, 0x3f0a6770, v100
	v_mul_f32_e32 v205, 0xbf27a4f4, v7
	v_add_f32_e32 v7, v200, v122
	v_add_f32_e32 v122, v203, v201
	v_mul_f32_e32 v201, 0xbf0a6770, v6
	v_add_f32_e32 v21, v22, v21
	v_add_f32_e32 v13, v15, v13
	;; [unrolled: 1-line block ×3, first 2 shown]
	v_fmamk_f32 v119, v102, 0x3f575c64, v204
	v_fmamk_f32 v200, v36, 0x3f4178ce, v205
	v_fmamk_f32 v15, v38, 0x3f575c64, v201
	v_mul_f32_e32 v22, 0xbf68dda4, v59
	v_mul_f32_e32 v58, 0xbf75a155, v58
	v_add_f32_e32 v16, v16, v21
	v_add_f32_e32 v13, v25, v13
	;; [unrolled: 1-line block ×5, first 2 shown]
	v_fmamk_f32 v21, v62, 0x3ed4b147, v22
	v_mul_f32_e32 v25, 0xbf7d64f0, v88
	v_add_f32_e32 v16, v31, v16
	v_add_f32_e32 v13, v32, v13
	v_fmamk_f32 v31, v94, 0x3e903f40, v58
	v_add_f32_e32 v15, v21, v15
	v_fmamk_f32 v21, v89, 0xbe11bafb, v25
	v_add_f32_e32 v16, v9, v16
	v_add_f32_e32 v13, v60, v13
	;; [unrolled: 1-line block ×3, first 2 shown]
	v_mul_f32_e32 v31, 0xbf4178ce, v96
	v_add_f32_e32 v12, v21, v15
	v_add_f32_e32 v8, v8, v16
	v_add_f32_e32 v13, v61, v13
	v_mul_f32_e32 v21, 0xbe903f40, v100
	v_fmamk_f32 v15, v98, 0xbf27a4f4, v31
	v_fmac_f32_e32 v24, 0xbe903f40, v23
	v_add_f32_e32 v8, v33, v8
	v_add_f32_e32 v13, v34, v13
	v_fmac_f32_e32 v26, 0x3f0a6770, v29
	v_add_f32_e32 v12, v15, v12
	v_fmamk_f32 v15, v102, 0xbf75a155, v21
	v_add_f32_e32 v16, v91, v24
	v_add_f32_e32 v14, v14, v8
	;; [unrolled: 1-line block ×3, first 2 shown]
	v_fmac_f32_e32 v10, 0xbf4178ce, v28
	v_add_f32_e32 v8, v15, v12
	v_fma_f32 v12, 0xbf75a155, v38, -v39
	v_add_f32_e32 v13, v26, v16
	v_add_f32_e32 v14, v18, v14
	;; [unrolled: 1-line block ×3, first 2 shown]
	v_fma_f32 v16, 0x3f575c64, v62, -v63
	v_add_f32_e32 v12, v90, v12
	v_fmac_f32_e32 v95, 0xbf4178ce, v23
	v_add_f32_e32 v13, v10, v13
	v_add_f32_e32 v11, v20, v14
	;; [unrolled: 1-line block ×4, first 2 shown]
	v_fma_f32 v14, 0xbf27a4f4, v89, -v92
	v_add_f32_e32 v15, v91, v95
	v_fmac_f32_e32 v97, 0x3f7d64f0, v29
	v_fma_f32 v16, 0xbf27a4f4, v38, -v105
	v_fmac_f32_e32 v101, 0xbf0a6770, v28
	v_add_f32_e32 v12, v14, v12
	v_fma_f32 v14, 0x3ed4b147, v98, -v99
	v_add_f32_e32 v15, v97, v15
	v_add_f32_e32 v16, v90, v16
	v_fma_f32 v17, 0xbe11bafb, v62, -v107
	v_fmac_f32_e32 v104, 0xbe903f40, v36
	v_add_f32_e32 v12, v14, v12
	v_add_f32_e32 v14, v101, v15
	v_fmac_f32_e32 v108, 0xbf7d64f0, v23
	v_add_f32_e32 v15, v17, v16
	v_fma_f32 v16, 0x3f575c64, v89, -v109
	v_fma_f32 v17, 0xbe11bafb, v102, -v103
	v_add_f32_e32 v14, v104, v14
	v_fmac_f32_e32 v106, 0x3f68dda4, v94
	v_fma_f32 v18, 0xbf75a155, v98, -v112
	v_add_f32_e32 v16, v16, v15
	v_add_f32_e32 v12, v17, v12
	v_fma_f32 v17, 0xbe11bafb, v38, -v117
	v_add_f32_e32 v19, v91, v108
	v_fmac_f32_e32 v111, 0x3e903f40, v29
	v_add_f32_e32 v15, v106, v14
	v_add_f32_e32 v14, v18, v16
	;; [unrolled: 1-line block ×3, first 2 shown]
	v_fma_f32 v18, 0xbf75a155, v62, -v118
	v_fmac_f32_e32 v113, 0xbf68dda4, v23
	v_add_f32_e32 v16, v111, v19
	v_fmac_f32_e32 v114, 0x3f68dda4, v28
	v_fma_f32 v19, 0x3ed4b147, v102, -v115
	v_add_f32_e32 v17, v18, v17
	v_fma_f32 v18, 0x3ed4b147, v89, -v120
	v_add_f32_e32 v20, v91, v113
	v_fmac_f32_e32 v123, 0xbf4178ce, v29
	v_add_f32_e32 v16, v114, v16
	v_fmac_f32_e32 v116, 0xbf0a6770, v36
	v_add_f32_e32 v14, v19, v14
	v_add_f32_e32 v17, v18, v17
	v_fma_f32 v18, 0x3f575c64, v98, -v177
	v_add_f32_e32 v19, v123, v20
	v_fmac_f32_e32 v184, 0x3e903f40, v28
	v_fma_f32 v20, 0x3ed4b147, v38, -v197
	v_add_f32_e32 v16, v116, v16
	v_fmac_f32_e32 v110, 0xbf4178ce, v94
	v_add_f32_e32 v18, v18, v17
	v_fma_f32 v24, 0xbf27a4f4, v102, -v195
	v_add_f32_e32 v19, v184, v19
	v_fmac_f32_e32 v196, 0x3f7d64f0, v36
	v_add_f32_e32 v20, v90, v20
	v_fma_f32 v26, 0xbf27a4f4, v62, -v121
	v_fmac_f32_e32 v198, 0xbf0a6770, v23
	v_add_f32_e32 v17, v110, v16
	v_add_f32_e32 v16, v24, v18
	;; [unrolled: 1-line block ×4, first 2 shown]
	v_fma_f32 v20, 0xbf75a155, v89, -v199
	v_fma_f32 v23, 0x3f575c64, v38, -v201
	v_add_f32_e32 v24, v91, v198
	v_fmac_f32_e32 v27, 0xbf68dda4, v29
	v_fma_f32 v22, 0x3ed4b147, v62, -v22
	v_add_f32_e32 v19, v20, v19
	v_add_f32_e32 v20, v90, v23
	v_fma_f32 v23, 0xbe11bafb, v98, -v202
	v_add_f32_e32 v24, v27, v24
	v_fmac_f32_e32 v30, 0xbf7d64f0, v28
	v_mov_b32_e32 v26, 0x42
	v_add_f32_e32 v20, v22, v20
	v_fma_f32 v22, 0xbe11bafb, v89, -v25
	v_add_f32_e32 v23, v23, v19
	v_add_f32_e32 v19, v30, v24
	v_mul_u32_u24_sdwa v24, v182, v26 dst_sel:DWORD dst_unused:UNUSED_PAD src0_sel:WORD_0 src1_sel:DWORD
	v_fmac_f32_e32 v35, 0x3f68dda4, v36
	v_fmac_f32_e32 v205, 0xbf4178ce, v36
	v_add_f32_e32 v20, v22, v20
	v_fma_f32 v22, 0xbf27a4f4, v98, -v31
	v_add_nc_u32_sdwa v24, v24, v183 dst_sel:DWORD dst_unused:UNUSED_PAD src0_sel:DWORD src1_sel:BYTE_0
	v_add_f32_e32 v13, v35, v13
	v_fmac_f32_e32 v93, 0xbf7d64f0, v94
	v_fmac_f32_e32 v178, 0x3f0a6770, v94
	v_fma_f32 v25, 0x3f575c64, v102, -v204
	v_add_f32_e32 v26, v205, v19
	v_fmac_f32_e32 v58, 0xbe903f40, v94
	v_add_f32_e32 v20, v22, v20
	v_fma_f32 v22, 0xbf75a155, v102, -v21
	v_lshl_add_u32 v24, v24, 3, v181
	v_add_f32_e32 v13, v93, v13
	v_add_f32_e32 v19, v178, v18
	;; [unrolled: 1-line block ×5, first 2 shown]
	ds_write2_b64 v24, v[10:11], v[8:9] offset1:6
	ds_write2_b64 v24, v[6:7], v[4:5] offset0:12 offset1:18
	ds_write2_b64 v24, v[2:3], v[0:1] offset0:24 offset1:30
	;; [unrolled: 1-line block ×4, first 2 shown]
	ds_write_b64 v24, v[20:21] offset:480
.LBB0_9:
	s_or_b32 exec_lo, exec_lo, s0
	v_add_nc_u32_e32 v1, 0x1000, v180
	s_waitcnt lgkmcnt(0)
	s_barrier
	buffer_gl0_inv
	v_add_nc_u32_e32 v3, 0x1800, v180
	ds_read2_b64 v[4:7], v1 offset0:16 offset1:82
	ds_read2_b64 v[8:11], v1 offset0:148 offset1:214
	;; [unrolled: 1-line block ×3, first 2 shown]
	v_add_nc_u32_e32 v2, 0x800, v180
	v_add_nc_u32_e32 v0, 0x2000, v180
	ds_read2_b64 v[16:19], v180 offset1:66
	ds_read2_b64 v[20:23], v180 offset0:132 offset1:198
	ds_read2_b64 v[24:27], v2 offset0:8 offset1:74
	;; [unrolled: 1-line block ×5, first 2 shown]
	s_waitcnt lgkmcnt(0)
	s_barrier
	buffer_gl0_inv
	s_mov_b32 s0, 0x2b18ff23
	s_mov_b32 s1, 0x3f4b951e
	s_mul_i32 s4, s9, 0xffffe320
	s_sub_i32 s4, s4, s8
	v_mul_f32_e32 v36, v162, v7
	v_mul_f32_e32 v38, v162, v6
	;; [unrolled: 1-line block ×5, first 2 shown]
	v_fmac_f32_e32 v36, v161, v6
	v_mul_f32_e32 v6, v174, v14
	v_fma_f32 v7, v161, v7, -v38
	v_fma_f32 v38, v175, v11, -v88
	;; [unrolled: 1-line block ×3, first 2 shown]
	v_mul_f32_e32 v39, v162, v9
	v_fma_f32 v90, v173, v15, -v6
	v_mul_f32_e32 v6, v170, v28
	v_mul_f32_e32 v63, v176, v11
	;; [unrolled: 1-line block ×3, first 2 shown]
	v_fma_f32 v9, v161, v9, -v62
	v_mul_f32_e32 v62, v170, v29
	v_fma_f32 v29, v169, v29, -v6
	v_mul_f32_e32 v6, v166, v58
	v_mul_f32_e32 v93, v166, v59
	;; [unrolled: 1-line block ×3, first 2 shown]
	v_fmac_f32_e32 v39, v161, v8
	v_fmac_f32_e32 v63, v175, v10
	;; [unrolled: 1-line block ×3, first 2 shown]
	v_mul_f32_e32 v8, v168, v30
	v_fma_f32 v59, v165, v59, -v6
	v_mul_f32_e32 v10, v164, v60
	v_sub_f32_e32 v6, v16, v36
	v_sub_f32_e32 v7, v17, v7
	v_mul_f32_e32 v92, v168, v31
	v_fmac_f32_e32 v93, v165, v58
	v_mul_f32_e32 v58, v164, v61
	v_fmac_f32_e32 v91, v173, v14
	v_fma_f32 v31, v167, v31, -v8
	v_sub_f32_e32 v8, v18, v39
	v_fma_f32 v36, v163, v61, -v10
	v_fma_f32 v10, v16, 2.0, -v6
	v_fma_f32 v11, v17, 2.0, -v7
	v_sub_f32_e32 v9, v19, v9
	v_sub_f32_e32 v14, v20, v63
	;; [unrolled: 1-line block ×5, first 2 shown]
	v_fmac_f32_e32 v62, v169, v28
	v_fmac_f32_e32 v92, v167, v30
	;; [unrolled: 1-line block ×3, first 2 shown]
	v_fma_f32 v12, v18, 2.0, -v8
	v_fma_f32 v13, v19, 2.0, -v9
	;; [unrolled: 1-line block ×5, first 2 shown]
	v_sub_f32_e32 v22, v24, v91
	v_fma_f32 v21, v23, 2.0, -v17
	v_sub_f32_e32 v23, v25, v90
	v_sub_f32_e32 v28, v26, v62
	;; [unrolled: 1-line block ×7, first 2 shown]
	v_add_nc_u32_e32 v36, 0x800, v191
	v_sub_f32_e32 v38, v34, v93
	v_add_nc_u32_e32 v60, 0x800, v190
	v_sub_f32_e32 v58, v4, v58
	v_fma_f32 v24, v24, 2.0, -v22
	v_fma_f32 v25, v25, 2.0, -v23
	ds_write2_b64 v180, v[10:11], v[6:7] offset1:66
	ds_write2_b64 v180, v[12:13], v[8:9] offset0:132 offset1:198
	ds_write2_b64 v36, v[18:19], v[14:15] offset0:8 offset1:74
	;; [unrolled: 1-line block ×3, first 2 shown]
	v_add_nc_u32_e32 v6, 0x1000, v189
	v_fma_f32 v26, v26, 2.0, -v28
	v_fma_f32 v27, v27, 2.0, -v29
	v_add_nc_u32_e32 v7, 0x1000, v188
	v_fma_f32 v32, v32, 2.0, -v30
	v_fma_f32 v33, v33, 2.0, -v31
	;; [unrolled: 3-line block ×4, first 2 shown]
	v_add_nc_u32_e32 v10, 0x2000, v185
	ds_write2_b64 v6, v[24:25], v[22:23] offset0:16 offset1:82
	ds_write2_b64 v7, v[26:27], v[28:29] offset0:148 offset1:214
	;; [unrolled: 1-line block ×5, first 2 shown]
	s_waitcnt lgkmcnt(0)
	s_barrier
	buffer_gl0_inv
	ds_read2_b64 v[4:7], v2 offset0:140 offset1:206
	ds_read2_b64 v[8:11], v3 offset0:24 offset1:90
	ds_read2_b64 v[12:15], v180 offset1:66
	ds_read2_b64 v[16:19], v1 offset0:16 offset1:82
	ds_read2_b64 v[20:23], v180 offset0:132 offset1:198
	;; [unrolled: 1-line block ×6, first 2 shown]
	s_waitcnt lgkmcnt(0)
	s_barrier
	buffer_gl0_inv
	v_mul_f32_e32 v36, v53, v5
	v_mul_f32_e32 v38, v53, v4
	;; [unrolled: 1-line block ×5, first 2 shown]
	v_fmac_f32_e32 v36, v52, v4
	v_mul_f32_e32 v4, v55, v8
	v_fma_f32 v5, v52, v5, -v38
	v_mul_f32_e32 v38, v49, v7
	v_fmac_f32_e32 v39, v54, v8
	v_mul_f32_e32 v8, v49, v6
	v_fma_f32 v9, v54, v9, -v4
	v_mul_f32_e32 v4, v51, v10
	v_fmac_f32_e32 v38, v48, v6
	v_mul_f32_e32 v6, v53, v16
	v_mul_f32_e32 v53, v55, v25
	v_fmac_f32_e32 v88, v52, v16
	v_fma_f32 v11, v50, v11, -v4
	v_mul_f32_e32 v4, v55, v24
	v_fma_f32 v17, v52, v17, -v6
	v_mul_f32_e32 v52, v49, v19
	v_mul_f32_e32 v6, v49, v18
	v_fma_f32 v63, v48, v7, -v8
	v_fmac_f32_e32 v53, v54, v24
	v_fma_f32 v24, v54, v25, -v4
	v_fmac_f32_e32 v52, v48, v18
	v_mul_f32_e32 v4, v51, v26
	v_fma_f32 v48, v48, v19, -v6
	v_mul_f32_e32 v49, v45, v33
	v_mul_f32_e32 v6, v45, v32
	;; [unrolled: 1-line block ×3, first 2 shown]
	v_fma_f32 v27, v50, v27, -v4
	v_mul_f32_e32 v45, v47, v59
	v_fmac_f32_e32 v49, v44, v32
	v_mul_f32_e32 v4, v47, v58
	v_fma_f32 v33, v44, v33, -v6
	v_mul_f32_e32 v44, v41, v35
	v_mul_f32_e32 v6, v41, v34
	v_fmac_f32_e32 v45, v46, v58
	v_fma_f32 v41, v46, v59, -v4
	v_mul_f32_e32 v46, v43, v61
	v_fmac_f32_e32 v44, v40, v34
	v_mul_f32_e32 v4, v43, v60
	v_fma_f32 v40, v40, v35, -v6
	v_add_f32_e32 v6, v36, v39
	v_fmac_f32_e32 v62, v50, v10
	v_fmac_f32_e32 v46, v42, v60
	v_add_f32_e32 v7, v12, v36
	v_fma_f32 v42, v42, v61, -v4
	v_add_f32_e32 v8, v5, v9
	v_fma_f32 v4, -0.5, v6, v12
	v_sub_f32_e32 v10, v5, v9
	v_add_f32_e32 v6, v7, v39
	v_add_f32_e32 v7, v13, v5
	v_fma_f32 v5, -0.5, v8, v13
	v_sub_f32_e32 v12, v36, v39
	v_fmamk_f32 v8, v10, 0xbf5db3d7, v4
	v_fmac_f32_e32 v4, 0x3f5db3d7, v10
	v_add_f32_e32 v10, v38, v62
	v_add_f32_e32 v7, v7, v9
	v_fmamk_f32 v9, v12, 0x3f5db3d7, v5
	v_add_f32_e32 v13, v14, v38
	v_fmac_f32_e32 v5, 0xbf5db3d7, v12
	v_add_f32_e32 v12, v63, v11
	v_fma_f32 v14, -0.5, v10, v14
	v_sub_f32_e32 v16, v63, v11
	v_fmac_f32_e32 v25, v50, v26
	v_add_f32_e32 v10, v13, v62
	v_add_f32_e32 v13, v15, v63
	v_fmac_f32_e32 v15, -0.5, v12
	v_sub_f32_e32 v18, v38, v62
	v_fmamk_f32 v12, v16, 0xbf5db3d7, v14
	v_fmac_f32_e32 v14, 0x3f5db3d7, v16
	v_add_f32_e32 v16, v88, v53
	v_add_f32_e32 v19, v20, v88
	;; [unrolled: 1-line block ×4, first 2 shown]
	v_fmamk_f32 v13, v18, 0x3f5db3d7, v15
	v_fmac_f32_e32 v15, 0xbf5db3d7, v18
	v_fma_f32 v16, -0.5, v16, v20
	v_sub_f32_e32 v32, v17, v24
	v_add_f32_e32 v18, v19, v53
	v_add_f32_e32 v19, v21, v17
	v_fma_f32 v17, -0.5, v26, v21
	v_sub_f32_e32 v26, v88, v53
	v_fmamk_f32 v20, v32, 0xbf5db3d7, v16
	v_fmac_f32_e32 v16, 0x3f5db3d7, v32
	v_add_f32_e32 v19, v19, v24
	v_add_f32_e32 v24, v52, v25
	v_fmamk_f32 v21, v26, 0x3f5db3d7, v17
	v_add_f32_e32 v32, v22, v52
	v_fmac_f32_e32 v17, 0xbf5db3d7, v26
	v_add_f32_e32 v26, v48, v27
	v_fma_f32 v22, -0.5, v24, v22
	v_sub_f32_e32 v35, v52, v25
	v_add_f32_e32 v24, v32, v25
	v_add_f32_e32 v32, v23, v48
	v_fmac_f32_e32 v23, -0.5, v26
	v_sub_f32_e32 v34, v48, v27
	v_sub_f32_e32 v36, v33, v41
	;; [unrolled: 1-line block ×3, first 2 shown]
	v_add_f32_e32 v25, v32, v27
	v_add_f32_e32 v32, v49, v45
	v_fmamk_f32 v27, v35, 0x3f5db3d7, v23
	v_fmac_f32_e32 v23, 0xbf5db3d7, v35
	v_add_f32_e32 v35, v33, v41
	v_fmamk_f32 v26, v34, 0xbf5db3d7, v22
	v_fmac_f32_e32 v22, 0x3f5db3d7, v34
	v_add_f32_e32 v34, v28, v49
	v_fma_f32 v28, -0.5, v32, v28
	v_add_f32_e32 v33, v29, v33
	v_fma_f32 v29, -0.5, v35, v29
	v_add_f32_e32 v39, v30, v44
	v_add_f32_e32 v32, v34, v45
	v_fmamk_f32 v34, v36, 0xbf5db3d7, v28
	v_fmac_f32_e32 v28, 0x3f5db3d7, v36
	v_add_f32_e32 v36, v44, v46
	v_fmamk_f32 v35, v38, 0x3f5db3d7, v29
	v_fmac_f32_e32 v29, 0xbf5db3d7, v38
	v_add_f32_e32 v38, v40, v42
	v_add_f32_e32 v33, v33, v41
	v_fma_f32 v30, -0.5, v36, v30
	v_sub_f32_e32 v36, v40, v42
	v_add_f32_e32 v41, v31, v40
	v_fmac_f32_e32 v31, -0.5, v38
	v_sub_f32_e32 v43, v44, v46
	ds_write2_b64 v180, v[6:7], v[10:11] offset1:66
	ds_write2_b64 v180, v[8:9], v[12:13] offset0:132 offset1:198
	ds_write2_b64 v2, v[4:5], v[14:15] offset0:8 offset1:74
	v_add_nc_u32_e32 v4, 0x1800, v193
	v_add_f32_e32 v38, v39, v46
	v_fmamk_f32 v40, v36, 0xbf5db3d7, v30
	v_fmac_f32_e32 v30, 0x3f5db3d7, v36
	v_add_f32_e32 v39, v41, v42
	v_fmamk_f32 v41, v43, 0x3f5db3d7, v31
	v_fmac_f32_e32 v31, 0xbf5db3d7, v43
	v_add_nc_u32_e32 v5, 0x1800, v192
	ds_write2_b64 v2, v[18:19], v[24:25] offset0:140 offset1:206
	ds_write2_b64 v1, v[20:21], v[26:27] offset0:16 offset1:82
	;; [unrolled: 1-line block ×4, first 2 shown]
	ds_write_b64 v193, v[28:29] offset:8448
	ds_write2_b64 v5, v[38:39], v[40:41] offset0:24 offset1:156
	ds_write_b64 v192, v[30:31] offset:8448
	s_waitcnt lgkmcnt(0)
	s_barrier
	buffer_gl0_inv
	ds_read2_b64 v[4:7], v2 offset0:140 offset1:206
	ds_read2_b64 v[8:11], v3 offset0:24 offset1:90
	ds_read2_b64 v[12:15], v180 offset1:66
	ds_read2_b64 v[16:19], v1 offset0:16 offset1:82
	ds_read2_b64 v[20:23], v180 offset0:132 offset1:198
	;; [unrolled: 1-line block ×6, first 2 shown]
	s_waitcnt lgkmcnt(8)
	v_mul_f32_e32 v36, v85, v5
	v_mul_f32_e32 v42, v85, v4
	s_waitcnt lgkmcnt(7)
	v_mul_f32_e32 v43, v87, v9
	v_mul_f32_e32 v44, v83, v11
	s_waitcnt lgkmcnt(5)
	v_mul_f32_e32 v46, v77, v17
	v_fmac_f32_e32 v36, v84, v4
	v_mul_f32_e32 v4, v87, v8
	v_fma_f32 v5, v84, v5, -v42
	v_mul_f32_e32 v42, v81, v7
	v_fmac_f32_e32 v43, v86, v8
	v_mul_f32_e32 v8, v81, v6
	v_fma_f32 v9, v86, v9, -v4
	v_mul_f32_e32 v4, v83, v10
	v_fmac_f32_e32 v42, v80, v6
	v_mul_f32_e32 v6, v77, v16
	s_waitcnt lgkmcnt(3)
	v_mul_f32_e32 v47, v79, v25
	s_waitcnt lgkmcnt(1)
	v_mul_f32_e32 v50, v69, v33
	v_fma_f32 v11, v82, v11, -v4
	v_mul_f32_e32 v4, v79, v24
	v_fma_f32 v17, v76, v17, -v6
	v_mul_f32_e32 v6, v73, v18
	v_fmac_f32_e32 v47, v78, v24
	s_waitcnt lgkmcnt(0)
	v_mul_f32_e32 v51, v71, v39
	v_fma_f32 v24, v78, v25, -v4
	v_mul_f32_e32 v4, v75, v26
	v_fma_f32 v49, v72, v19, -v6
	v_mul_f32_e32 v6, v69, v32
	v_mul_f32_e32 v25, v75, v27
	v_fmac_f32_e32 v51, v70, v38
	v_fma_f32 v27, v74, v27, -v4
	v_mul_f32_e32 v4, v71, v38
	v_fma_f32 v33, v68, v33, -v6
	v_mul_f32_e32 v6, v65, v34
	v_fma_f32 v45, v80, v7, -v8
	v_fmac_f32_e32 v44, v82, v10
	v_fma_f32 v38, v70, v39, -v4
	v_mul_f32_e32 v4, v67, v40
	v_fma_f32 v53, v64, v35, -v6
	v_add_f32_e32 v6, v36, v43
	v_mul_f32_e32 v39, v67, v41
	v_add_f32_e32 v7, v12, v36
	v_fma_f32 v41, v66, v41, -v4
	v_add_f32_e32 v8, v5, v9
	v_fma_f32 v4, -0.5, v6, v12
	v_sub_f32_e32 v10, v5, v9
	v_add_f32_e32 v6, v7, v43
	v_add_f32_e32 v7, v13, v5
	v_fma_f32 v5, -0.5, v8, v13
	v_sub_f32_e32 v12, v36, v43
	v_fmamk_f32 v8, v10, 0xbf5db3d7, v4
	v_fmac_f32_e32 v4, 0x3f5db3d7, v10
	v_add_f32_e32 v10, v42, v44
	v_fmac_f32_e32 v46, v76, v16
	v_mul_f32_e32 v48, v73, v19
	v_add_f32_e32 v7, v7, v9
	v_fmamk_f32 v9, v12, 0x3f5db3d7, v5
	v_add_f32_e32 v13, v14, v42
	v_fmac_f32_e32 v5, 0xbf5db3d7, v12
	v_add_f32_e32 v12, v45, v11
	v_fma_f32 v14, -0.5, v10, v14
	v_sub_f32_e32 v16, v45, v11
	v_fmac_f32_e32 v48, v72, v18
	v_add_f32_e32 v10, v13, v44
	v_add_f32_e32 v13, v15, v45
	v_fmac_f32_e32 v15, -0.5, v12
	v_sub_f32_e32 v18, v42, v44
	v_fmamk_f32 v12, v16, 0xbf5db3d7, v14
	v_fmac_f32_e32 v14, 0x3f5db3d7, v16
	v_add_f32_e32 v16, v46, v47
	v_add_f32_e32 v19, v20, v46
	v_fmac_f32_e32 v25, v74, v26
	v_fmac_f32_e32 v50, v68, v32
	v_add_f32_e32 v11, v13, v11
	v_fmamk_f32 v13, v18, 0x3f5db3d7, v15
	v_fmac_f32_e32 v15, 0xbf5db3d7, v18
	v_add_f32_e32 v26, v17, v24
	v_fma_f32 v16, -0.5, v16, v20
	v_sub_f32_e32 v32, v17, v24
	v_add_f32_e32 v18, v19, v47
	v_add_f32_e32 v19, v21, v17
	v_fma_f32 v17, -0.5, v26, v21
	v_sub_f32_e32 v26, v46, v47
	v_fmamk_f32 v20, v32, 0xbf5db3d7, v16
	v_fmac_f32_e32 v16, 0x3f5db3d7, v32
	v_add_f32_e32 v19, v19, v24
	v_add_f32_e32 v24, v48, v25
	;; [unrolled: 1-line block ×3, first 2 shown]
	v_mul_f32_e32 v52, v65, v35
	v_fmamk_f32 v21, v26, 0x3f5db3d7, v17
	v_fmac_f32_e32 v17, 0xbf5db3d7, v26
	v_add_f32_e32 v26, v49, v27
	v_fma_f32 v22, -0.5, v24, v22
	v_add_f32_e32 v24, v32, v25
	v_add_f32_e32 v32, v23, v49
	v_fmac_f32_e32 v52, v64, v34
	v_sub_f32_e32 v34, v49, v27
	v_fmac_f32_e32 v23, -0.5, v26
	v_sub_f32_e32 v35, v48, v25
	v_add_f32_e32 v25, v32, v27
	v_add_f32_e32 v32, v50, v51
	v_fmac_f32_e32 v39, v66, v40
	v_fmamk_f32 v26, v34, 0xbf5db3d7, v22
	v_fmac_f32_e32 v22, 0x3f5db3d7, v34
	v_fmamk_f32 v27, v35, 0x3f5db3d7, v23
	v_add_f32_e32 v34, v28, v50
	v_fmac_f32_e32 v23, 0xbf5db3d7, v35
	v_add_f32_e32 v35, v33, v38
	v_fma_f32 v28, -0.5, v32, v28
	v_sub_f32_e32 v36, v33, v38
	v_add_f32_e32 v33, v29, v33
	v_add_f32_e32 v32, v34, v51
	v_fma_f32 v29, -0.5, v35, v29
	v_sub_f32_e32 v40, v50, v51
	v_fmamk_f32 v34, v36, 0xbf5db3d7, v28
	v_fmac_f32_e32 v28, 0x3f5db3d7, v36
	v_add_f32_e32 v33, v33, v38
	v_add_f32_e32 v36, v52, v39
	;; [unrolled: 1-line block ×3, first 2 shown]
	v_fmamk_f32 v35, v40, 0x3f5db3d7, v29
	v_fmac_f32_e32 v29, 0xbf5db3d7, v40
	v_add_f32_e32 v40, v30, v52
	v_fma_f32 v30, -0.5, v36, v30
	v_sub_f32_e32 v36, v53, v41
	v_add_f32_e32 v42, v31, v53
	v_fmac_f32_e32 v31, -0.5, v38
	v_sub_f32_e32 v43, v52, v39
	v_add_f32_e32 v38, v40, v39
	v_fmamk_f32 v40, v36, 0xbf5db3d7, v30
	v_fmac_f32_e32 v30, 0x3f5db3d7, v36
	v_add_f32_e32 v39, v42, v41
	v_fmamk_f32 v41, v43, 0x3f5db3d7, v31
	v_fmac_f32_e32 v31, 0xbf5db3d7, v43
	ds_write2_b64 v180, v[6:7], v[10:11] offset1:66
	ds_write2_b64 v2, v[8:9], v[12:13] offset0:140 offset1:206
	ds_write2_b64 v3, v[4:5], v[14:15] offset0:24 offset1:90
	ds_write_b64 v194, v[20:21] offset:3168
	ds_write_b64 v194, v[16:17] offset:6336
	ds_write2_b64 v180, v[18:19], v[24:25] offset0:132 offset1:198
	ds_write_b64 v57, v[26:27] offset:3168
	ds_write_b64 v57, v[22:23] offset:6336
	;; [unrolled: 1-line block ×4, first 2 shown]
	ds_write2_b64 v2, v[32:33], v[38:39] offset0:8 offset1:74
	ds_write_b64 v37, v[40:41] offset:3168
	ds_write_b64 v37, v[30:31] offset:6336
	s_waitcnt lgkmcnt(0)
	s_barrier
	buffer_gl0_inv
	ds_read2_b64 v[4:7], v180 offset1:66
	v_mad_u64_u32 v[18:19], null, s10, v138, 0
	v_mad_u64_u32 v[24:25], null, s8, v179, 0
	v_mov_b32_e32 v14, v19
	s_waitcnt lgkmcnt(0)
	v_mul_f32_e32 v8, v150, v5
	v_mul_f32_e32 v9, v150, v4
	v_fmac_f32_e32 v8, v149, v4
	v_fma_f32 v9, v149, v5, -v9
	v_cvt_f64_f32_e32 v[4:5], v8
	v_cvt_f64_f32_e32 v[12:13], v9
	ds_read2_b64 v[8:11], v180 offset0:132 offset1:198
	s_waitcnt lgkmcnt(0)
	v_mul_f32_e32 v15, v156, v11
	v_mul_f64 v[22:23], v[12:13], s[0:1]
	v_mul_f32_e32 v12, v156, v10
	v_mul_f64 v[4:5], v[4:5], s[0:1]
	v_fmac_f32_e32 v15, v155, v10
	v_mad_u64_u32 v[19:20], null, s11, v138, v[14:15]
	v_fma_f32 v14, v155, v11, -v12
	v_cvt_f64_f32_e32 v[26:27], v15
	ds_read2_b64 v[10:13], v2 offset0:140 offset1:206
	v_mov_b32_e32 v20, v25
	v_cvt_f64_f32_e32 v[28:29], v14
	ds_read2_b64 v[14:17], v1 offset0:16 offset1:82
	v_mad_u64_u32 v[30:31], null, s9, v179, v[20:21]
	v_lshlrev_b64 v[31:32], 3, v[18:19]
	ds_read2_b64 v[18:21], v3 offset0:24 offset1:90
	v_cvt_f32_f64_e32 v4, v[4:5]
	v_cvt_f32_f64_e32 v5, v[22:23]
	v_mov_b32_e32 v25, v30
	v_add_co_u32 v36, vcc_lo, s2, v31
	v_add_co_ci_u32_e32 v37, vcc_lo, s3, v32, vcc_lo
	v_lshlrev_b64 v[30:31], 3, v[24:25]
	s_waitcnt lgkmcnt(2)
	v_mul_f32_e32 v22, v160, v11
	v_mul_f32_e32 v23, v160, v10
	v_mul_f64 v[26:27], v[26:27], s[0:1]
	s_mul_i32 s2, s9, 0x630
	s_waitcnt lgkmcnt(1)
	v_mul_f32_e32 v24, v158, v17
	v_mul_f32_e32 v25, v158, v16
	v_fmac_f32_e32 v22, v159, v10
	v_fma_f32 v23, v159, v11, -v23
	v_mul_f64 v[28:29], v[28:29], s[0:1]
	v_fmac_f32_e32 v24, v157, v16
	v_fma_f32 v25, v157, v17, -v25
	s_waitcnt lgkmcnt(0)
	v_mul_f32_e32 v38, v154, v19
	v_cvt_f64_f32_e32 v[10:11], v22
	v_cvt_f64_f32_e32 v[16:17], v23
	;; [unrolled: 1-line block ×4, first 2 shown]
	ds_read2_b64 v[22:25], v3 offset0:156 offset1:222
	v_fmac_f32_e32 v38, v153, v18
	v_add_co_u32 v30, vcc_lo, v36, v30
	v_add_co_ci_u32_e32 v31, vcc_lo, v37, v31, vcc_lo
	v_cvt_f64_f32_e32 v[36:37], v38
	v_mul_f32_e32 v3, v154, v18
	v_cvt_f32_f64_e32 v26, v[26:27]
	global_store_dwordx2 v[30:31], v[4:5], off
	v_mul_f32_e32 v38, v140, v7
	s_mul_hi_u32 s3, s8, 0x630
	v_fma_f32 v3, v153, v19, -v3
	s_add_i32 s2, s3, s2
	v_cvt_f32_f64_e32 v27, v[28:29]
	v_fmac_f32_e32 v38, v139, v6
	s_mul_i32 s3, s8, 0x630
	v_mul_f32_e32 v46, v146, v12
	v_mul_f64 v[10:11], v[10:11], s[0:1]
	v_mul_f64 v[16:17], v[16:17], s[0:1]
	s_waitcnt lgkmcnt(0)
	v_mul_f32_e32 v4, v152, v25
	v_mul_f32_e32 v5, v152, v24
	v_mul_f64 v[28:29], v[32:33], s[0:1]
	v_mul_f64 v[18:19], v[34:35], s[0:1]
	v_cvt_f64_f32_e32 v[32:33], v3
	v_fmac_f32_e32 v4, v151, v24
	v_fma_f32 v3, v151, v25, -v5
	v_mul_f32_e32 v5, v140, v6
	v_mul_f64 v[24:25], v[36:37], s[0:1]
	v_add_co_u32 v6, vcc_lo, v30, s3
	v_cvt_f64_f32_e32 v[34:35], v4
	v_cvt_f64_f32_e32 v[36:37], v3
	v_fma_f32 v40, v139, v7, -v5
	ds_read2_b64 v[2:5], v2 offset0:8 offset1:74
	v_cvt_f64_f32_e32 v[38:39], v38
	v_add_co_ci_u32_e32 v7, vcc_lo, s2, v31, vcc_lo
	v_cvt_f64_f32_e32 v[30:31], v40
	v_fma_f32 v46, v145, v13, -v46
	v_cvt_f32_f64_e32 v10, v[10:11]
	v_cvt_f32_f64_e32 v11, v[16:17]
	v_add_co_u32 v40, vcc_lo, v6, s3
	v_cvt_f32_f64_e32 v28, v[28:29]
	v_cvt_f32_f64_e32 v29, v[18:19]
	ds_read2_b64 v[16:19], v1 offset0:148 offset1:214
	v_mul_f64 v[32:33], v[32:33], s[0:1]
	v_add_co_ci_u32_e32 v41, vcc_lo, s2, v7, vcc_lo
	v_cvt_f32_f64_e32 v1, v[24:25]
	v_add_co_u32 v42, vcc_lo, v40, s3
	v_mul_f64 v[24:25], v[34:35], s[0:1]
	v_mul_f64 v[34:35], v[36:37], s[0:1]
	s_waitcnt lgkmcnt(1)
	v_mul_f32_e32 v44, v144, v3
	v_mul_f32_e32 v45, v144, v2
	v_mul_f64 v[36:37], v[38:39], s[0:1]
	v_add_co_ci_u32_e32 v43, vcc_lo, s2, v41, vcc_lo
	v_fmac_f32_e32 v44, v143, v2
	v_fma_f32 v2, v143, v3, -v45
	v_mul_f32_e32 v3, v146, v13
	v_mul_f64 v[30:31], v[30:31], s[0:1]
	global_store_dwordx2 v[6:7], v[26:27], off
	v_cvt_f64_f32_e32 v[38:39], v44
	s_waitcnt lgkmcnt(0)
	v_mul_f32_e32 v48, v148, v16
	v_fmac_f32_e32 v3, v145, v12
	v_cvt_f64_f32_e32 v[44:45], v2
	v_cvt_f32_f64_e32 v2, v[32:33]
	v_cvt_f64_f32_e32 v[32:33], v46
	v_mul_f32_e32 v47, v148, v17
	v_cvt_f64_f32_e32 v[12:13], v3
	v_fma_f32 v3, v147, v17, -v48
	global_store_dwordx2 v[40:41], v[10:11], off
	v_cvt_f32_f64_e32 v24, v[24:25]
	v_cvt_f32_f64_e32 v25, v[34:35]
	v_fmac_f32_e32 v47, v147, v16
	v_cvt_f64_f32_e32 v[48:49], v3
	v_add_co_u32 v16, vcc_lo, v42, s3
	v_add_co_ci_u32_e32 v17, vcc_lo, s2, v43, vcc_lo
	v_mul_f32_e32 v3, v142, v21
	v_add_co_u32 v34, vcc_lo, v16, s3
	v_add_co_ci_u32_e32 v35, vcc_lo, s2, v17, vcc_lo
	v_fmac_f32_e32 v3, v141, v20
	v_cvt_f32_f64_e32 v36, v[36:37]
	v_cvt_f32_f64_e32 v37, v[30:31]
	v_mul_f64 v[30:31], v[38:39], s[0:1]
	global_store_dwordx2 v[42:43], v[28:29], off
	global_store_dwordx2 v[16:17], v[1:2], off
	global_store_dwordx2 v[34:35], v[24:25], off
	v_cvt_f64_f32_e32 v[16:17], v3
	ds_read2_b64 v[0:3], v0 offset0:32 offset1:98
	v_mul_f64 v[6:7], v[44:45], s[0:1]
	v_mul_f64 v[12:13], v[12:13], s[0:1]
	;; [unrolled: 1-line block ×4, first 2 shown]
	v_cvt_f64_f32_e32 v[46:47], v47
	v_mad_u64_u32 v[10:11], null, 0xffffe320, s8, v[34:35]
	v_mul_f32_e32 v20, v142, v20
	v_mul_f32_e32 v40, v127, v19
	;; [unrolled: 1-line block ×5, first 2 shown]
	v_fma_f32 v24, v141, v21, -v20
	v_cvt_f32_f64_e32 v20, v[30:31]
	v_add_nc_u32_e32 v11, s4, v11
	v_fmac_f32_e32 v40, v126, v18
	v_mul_f32_e32 v18, v127, v18
	v_mul_f32_e32 v43, v131, v22
	v_fmac_f32_e32 v38, v134, v14
	s_waitcnt lgkmcnt(0)
	v_mul_f32_e32 v30, v137, v1
	v_mul_f32_e32 v31, v137, v0
	global_store_dwordx2 v[10:11], v[36:37], off
	v_cvt_f32_f64_e32 v21, v[6:7]
	v_cvt_f64_f32_e32 v[6:7], v24
	v_cvt_f32_f64_e32 v12, v[12:13]
	v_cvt_f32_f64_e32 v13, v[26:27]
	;; [unrolled: 1-line block ×3, first 2 shown]
	v_mul_f32_e32 v32, v125, v9
	v_mul_f32_e32 v33, v125, v8
	v_fmac_f32_e32 v30, v136, v0
	v_fma_f32 v31, v136, v1, -v31
	v_mul_f32_e32 v36, v129, v5
	v_mul_f32_e32 v37, v129, v4
	v_fmac_f32_e32 v32, v124, v8
	v_fma_f32 v34, v124, v9, -v33
	v_cvt_f64_f32_e32 v[8:9], v30
	v_cvt_f64_f32_e32 v[30:31], v31
	v_mul_f64 v[28:29], v[46:47], s[0:1]
	v_fmac_f32_e32 v36, v128, v4
	v_fma_f32 v37, v128, v5, -v37
	v_mul_f32_e32 v44, v133, v3
	v_mul_f32_e32 v45, v133, v2
	v_fma_f32 v39, v134, v15, -v39
	v_cvt_f64_f32_e32 v[32:33], v32
	v_cvt_f64_f32_e32 v[34:35], v34
	v_fma_f32 v18, v126, v19, -v18
	v_fmac_f32_e32 v42, v130, v22
	v_fma_f32 v22, v130, v23, -v43
	v_cvt_f64_f32_e32 v[4:5], v36
	v_cvt_f64_f32_e32 v[14:15], v37
	v_fmac_f32_e32 v44, v132, v2
	v_fma_f32 v45, v132, v3, -v45
	v_cvt_f64_f32_e32 v[36:37], v38
	v_cvt_f64_f32_e32 v[38:39], v39
	;; [unrolled: 1-line block ×8, first 2 shown]
	v_add_co_u32 v10, vcc_lo, v10, s3
	v_add_co_ci_u32_e32 v11, vcc_lo, s2, v11, vcc_lo
	v_mul_f64 v[16:17], v[16:17], s[0:1]
	v_mul_f64 v[6:7], v[6:7], s[0:1]
	v_add_co_u32 v24, vcc_lo, v10, s3
	v_add_co_ci_u32_e32 v25, vcc_lo, s2, v11, vcc_lo
	v_mul_f64 v[8:9], v[8:9], s[0:1]
	v_mul_f64 v[30:31], v[30:31], s[0:1]
	v_cvt_f32_f64_e32 v26, v[28:29]
	v_add_co_u32 v28, vcc_lo, v24, s3
	v_add_co_ci_u32_e32 v29, vcc_lo, s2, v25, vcc_lo
	v_mul_f64 v[32:33], v[32:33], s[0:1]
	v_mul_f64 v[34:35], v[34:35], s[0:1]
	v_add_co_u32 v0, vcc_lo, v28, s3
	v_mul_f64 v[4:5], v[4:5], s[0:1]
	v_mul_f64 v[14:15], v[14:15], s[0:1]
	v_add_co_ci_u32_e32 v1, vcc_lo, s2, v29, vcc_lo
	global_store_dwordx2 v[10:11], v[20:21], off
	global_store_dwordx2 v[24:25], v[12:13], off
	v_mul_f64 v[12:13], v[36:37], s[0:1]
	v_mul_f64 v[20:21], v[38:39], s[0:1]
	;; [unrolled: 1-line block ×4, first 2 shown]
	v_add_co_u32 v46, vcc_lo, v0, s3
	v_mul_f64 v[18:19], v[18:19], s[0:1]
	v_mul_f64 v[22:23], v[22:23], s[0:1]
	;; [unrolled: 1-line block ×4, first 2 shown]
	v_add_co_ci_u32_e32 v47, vcc_lo, s2, v1, vcc_lo
	v_cvt_f32_f64_e32 v16, v[16:17]
	v_cvt_f32_f64_e32 v17, v[6:7]
	;; [unrolled: 1-line block ×3, first 2 shown]
	v_mad_u64_u32 v[10:11], null, 0xffffe320, s8, v[46:47]
	v_cvt_f32_f64_e32 v7, v[30:31]
	v_cvt_f32_f64_e32 v8, v[32:33]
	v_cvt_f32_f64_e32 v9, v[34:35]
	v_cvt_f32_f64_e32 v4, v[4:5]
	v_cvt_f32_f64_e32 v5, v[14:15]
	v_cvt_f32_f64_e32 v12, v[12:13]
	v_add_nc_u32_e32 v11, s4, v11
	v_add_co_u32 v14, vcc_lo, v10, s3
	v_cvt_f32_f64_e32 v13, v[20:21]
	v_cvt_f32_f64_e32 v20, v[24:25]
	v_add_co_ci_u32_e32 v15, vcc_lo, s2, v11, vcc_lo
	v_cvt_f32_f64_e32 v21, v[2:3]
	v_cvt_f32_f64_e32 v2, v[18:19]
	;; [unrolled: 1-line block ×5, first 2 shown]
	v_add_co_u32 v22, vcc_lo, v14, s3
	v_add_co_ci_u32_e32 v23, vcc_lo, s2, v15, vcc_lo
	global_store_dwordx2 v[28:29], v[26:27], off
	global_store_dwordx2 v[0:1], v[16:17], off
	v_add_co_u32 v0, vcc_lo, v22, s3
	v_add_co_ci_u32_e32 v1, vcc_lo, s2, v23, vcc_lo
	global_store_dwordx2 v[46:47], v[6:7], off
	v_add_co_u32 v6, vcc_lo, v0, s3
	v_add_co_ci_u32_e32 v7, vcc_lo, s2, v1, vcc_lo
	global_store_dwordx2 v[10:11], v[8:9], off
	v_add_co_u32 v8, vcc_lo, v6, s3
	v_add_co_ci_u32_e32 v9, vcc_lo, s2, v7, vcc_lo
	global_store_dwordx2 v[14:15], v[4:5], off
	global_store_dwordx2 v[22:23], v[12:13], off
	global_store_dwordx2 v[0:1], v[20:21], off
	global_store_dwordx2 v[6:7], v[2:3], off
	global_store_dwordx2 v[8:9], v[18:19], off
.LBB0_10:
	s_endpgm
	.section	.rodata,"a",@progbits
	.p2align	6, 0x0
	.amdhsa_kernel bluestein_single_fwd_len1188_dim1_sp_op_CI_CI
		.amdhsa_group_segment_fixed_size 28512
		.amdhsa_private_segment_fixed_size 0
		.amdhsa_kernarg_size 104
		.amdhsa_user_sgpr_count 6
		.amdhsa_user_sgpr_private_segment_buffer 1
		.amdhsa_user_sgpr_dispatch_ptr 0
		.amdhsa_user_sgpr_queue_ptr 0
		.amdhsa_user_sgpr_kernarg_segment_ptr 1
		.amdhsa_user_sgpr_dispatch_id 0
		.amdhsa_user_sgpr_flat_scratch_init 0
		.amdhsa_user_sgpr_private_segment_size 0
		.amdhsa_wavefront_size32 1
		.amdhsa_uses_dynamic_stack 0
		.amdhsa_system_sgpr_private_segment_wavefront_offset 0
		.amdhsa_system_sgpr_workgroup_id_x 1
		.amdhsa_system_sgpr_workgroup_id_y 0
		.amdhsa_system_sgpr_workgroup_id_z 0
		.amdhsa_system_sgpr_workgroup_info 0
		.amdhsa_system_vgpr_workitem_id 0
		.amdhsa_next_free_vgpr 256
		.amdhsa_next_free_sgpr 20
		.amdhsa_reserve_vcc 1
		.amdhsa_reserve_flat_scratch 0
		.amdhsa_float_round_mode_32 0
		.amdhsa_float_round_mode_16_64 0
		.amdhsa_float_denorm_mode_32 3
		.amdhsa_float_denorm_mode_16_64 3
		.amdhsa_dx10_clamp 1
		.amdhsa_ieee_mode 1
		.amdhsa_fp16_overflow 0
		.amdhsa_workgroup_processor_mode 1
		.amdhsa_memory_ordered 1
		.amdhsa_forward_progress 0
		.amdhsa_shared_vgpr_count 0
		.amdhsa_exception_fp_ieee_invalid_op 0
		.amdhsa_exception_fp_denorm_src 0
		.amdhsa_exception_fp_ieee_div_zero 0
		.amdhsa_exception_fp_ieee_overflow 0
		.amdhsa_exception_fp_ieee_underflow 0
		.amdhsa_exception_fp_ieee_inexact 0
		.amdhsa_exception_int_div_zero 0
	.end_amdhsa_kernel
	.text
.Lfunc_end0:
	.size	bluestein_single_fwd_len1188_dim1_sp_op_CI_CI, .Lfunc_end0-bluestein_single_fwd_len1188_dim1_sp_op_CI_CI
                                        ; -- End function
	.section	.AMDGPU.csdata,"",@progbits
; Kernel info:
; codeLenInByte = 21360
; NumSgprs: 22
; NumVgprs: 256
; ScratchSize: 0
; MemoryBound: 0
; FloatMode: 240
; IeeeMode: 1
; LDSByteSize: 28512 bytes/workgroup (compile time only)
; SGPRBlocks: 2
; VGPRBlocks: 31
; NumSGPRsForWavesPerEU: 22
; NumVGPRsForWavesPerEU: 256
; Occupancy: 4
; WaveLimiterHint : 1
; COMPUTE_PGM_RSRC2:SCRATCH_EN: 0
; COMPUTE_PGM_RSRC2:USER_SGPR: 6
; COMPUTE_PGM_RSRC2:TRAP_HANDLER: 0
; COMPUTE_PGM_RSRC2:TGID_X_EN: 1
; COMPUTE_PGM_RSRC2:TGID_Y_EN: 0
; COMPUTE_PGM_RSRC2:TGID_Z_EN: 0
; COMPUTE_PGM_RSRC2:TIDIG_COMP_CNT: 0
	.text
	.p2alignl 6, 3214868480
	.fill 48, 4, 3214868480
	.type	__hip_cuid_2b8d4ae6447ac2f3,@object ; @__hip_cuid_2b8d4ae6447ac2f3
	.section	.bss,"aw",@nobits
	.globl	__hip_cuid_2b8d4ae6447ac2f3
__hip_cuid_2b8d4ae6447ac2f3:
	.byte	0                               ; 0x0
	.size	__hip_cuid_2b8d4ae6447ac2f3, 1

	.ident	"AMD clang version 19.0.0git (https://github.com/RadeonOpenCompute/llvm-project roc-6.4.0 25133 c7fe45cf4b819c5991fe208aaa96edf142730f1d)"
	.section	".note.GNU-stack","",@progbits
	.addrsig
	.addrsig_sym __hip_cuid_2b8d4ae6447ac2f3
	.amdgpu_metadata
---
amdhsa.kernels:
  - .args:
      - .actual_access:  read_only
        .address_space:  global
        .offset:         0
        .size:           8
        .value_kind:     global_buffer
      - .actual_access:  read_only
        .address_space:  global
        .offset:         8
        .size:           8
        .value_kind:     global_buffer
      - .actual_access:  read_only
        .address_space:  global
        .offset:         16
        .size:           8
        .value_kind:     global_buffer
      - .actual_access:  read_only
        .address_space:  global
        .offset:         24
        .size:           8
        .value_kind:     global_buffer
      - .actual_access:  read_only
        .address_space:  global
        .offset:         32
        .size:           8
        .value_kind:     global_buffer
      - .offset:         40
        .size:           8
        .value_kind:     by_value
      - .address_space:  global
        .offset:         48
        .size:           8
        .value_kind:     global_buffer
      - .address_space:  global
        .offset:         56
        .size:           8
        .value_kind:     global_buffer
      - .address_space:  global
        .offset:         64
        .size:           8
        .value_kind:     global_buffer
      - .address_space:  global
        .offset:         72
        .size:           8
        .value_kind:     global_buffer
      - .offset:         80
        .size:           4
        .value_kind:     by_value
      - .address_space:  global
        .offset:         88
        .size:           8
        .value_kind:     global_buffer
      - .address_space:  global
        .offset:         96
        .size:           8
        .value_kind:     global_buffer
    .group_segment_fixed_size: 28512
    .kernarg_segment_align: 8
    .kernarg_segment_size: 104
    .language:       OpenCL C
    .language_version:
      - 2
      - 0
    .max_flat_workgroup_size: 198
    .name:           bluestein_single_fwd_len1188_dim1_sp_op_CI_CI
    .private_segment_fixed_size: 0
    .sgpr_count:     22
    .sgpr_spill_count: 0
    .symbol:         bluestein_single_fwd_len1188_dim1_sp_op_CI_CI.kd
    .uniform_work_group_size: 1
    .uses_dynamic_stack: false
    .vgpr_count:     256
    .vgpr_spill_count: 0
    .wavefront_size: 32
    .workgroup_processor_mode: 1
amdhsa.target:   amdgcn-amd-amdhsa--gfx1030
amdhsa.version:
  - 1
  - 2
...

	.end_amdgpu_metadata
